;; amdgpu-corpus repo=ROCm/aiter kind=harvested arch=n/a opt=n/a

/root/src/amdgpu-assembly/repos/ROCm__aiter/hsa/gfx950/fmoe_2stages/fmoe_stage1_bf16_pertokenFp8_g1u1_64x256_pf2.co:	file format elf64-amdgpu

Disassembly of section .text:

0000000000002a00 <_ZN5aiter44fmoe_stage1_bf16_pertokenFp8_g1u1_64x256_pf2E>:
	s_and_b32 s1, s1, 0xffff                                   // 000000002A00: 8601FF01 0000FFFF
	s_load_dwordx2 s[8:9], s[0:1], 0x0                         // 000000002A08: C0060200 00000000
	s_load_dwordx2 s[20:21], s[0:1], 0x10                      // 000000002A10: C0060500 00000010
	s_load_dwordx2 s[24:25], s[0:1], 0x20                      // 000000002A18: C0060600 00000020
	s_load_dwordx2 s[48:49], s[0:1], 0x30                      // 000000002A20: C0060C00 00000030
	s_load_dwordx2 s[28:29], s[0:1], 0x40                      // 000000002A28: C0060700 00000040
	s_load_dwordx2 s[32:33], s[0:1], 0x50                      // 000000002A30: C0060800 00000050
	s_load_dwordx2 s[36:37], s[0:1], 0x60                      // 000000002A38: C0060900 00000060
	s_load_dwordx2 s[12:13], s[0:1], 0x70                      // 000000002A40: C0060300 00000070
	s_load_dwordx2 s[44:45], s[0:1], 0x80                      // 000000002A48: C0060B00 00000080
	s_mov_b32 s89, 0                                           // 000000002A50: BED90080
	s_load_dword s64, s[0:1], 0x90                             // 000000002A54: C0021000 00000090
	s_load_dword s65, s[0:1], 0xa0                             // 000000002A5C: C0021040 000000A0
	s_load_dword s66, s[0:1], 0xb0                             // 000000002A64: C0021080 000000B0
	s_load_dword s67, s[0:1], 0xc0                             // 000000002A6C: C00210C0 000000C0
	s_load_dword s68, s[0:1], 0xd0                             // 000000002A74: C0021100 000000D0
	s_load_dword s69, s[0:1], 0xe0                             // 000000002A7C: C0021140 000000E0
	s_load_dword s71, s[0:1], 0xf0                             // 000000002A84: C00211C0 000000F0
	s_load_dword s72, s[0:1], 0x100                            // 000000002A8C: C0021200 00000100
	s_load_dword s74, s[0:1], 0x110                            // 000000002A94: C0021280 00000110
	s_load_dword s76, s[0:1], 0x120                            // 000000002A9C: C0021300 00000120
	s_load_dword s56, s[0:1], 0x130                            // 000000002AA4: C0020E00 00000130
	s_load_dword s88, s[0:1], 0x140                            // 000000002AAC: C0021600 00000140
	s_load_dword s89, s[0:1], 0x150                            // 000000002AB4: C0021640 00000150
	v_lshrrev_b32_e32 v1, 10, v0                               // 000000002ABC: 2002008A
	v_lshrrev_b32_e32 v2, 10, v1                               // 000000002AC0: 2004028A
	v_and_b32_e32 v2, 0x3ff, v2                                // 000000002AC4: 260404FF 000003FF
	v_and_b32_e32 v1, 0x3ff, v1                                // 000000002ACC: 260202FF 000003FF
	v_and_b32_e32 v0, 0x3ff, v0                                // 000000002AD4: 260000FF 000003FF
	v_lshrrev_b32_e32 v3, 6, v0                                // 000000002ADC: 20060086
	v_and_b32_e32 v0, 63, v0                                   // 000000002AE0: 260000BF
	s_mov_b32 s2, s2                                           // 000000002AE4: BE820002
	s_mov_b32 s3, s3                                           // 000000002AE8: BE830003
	s_mov_b32 s4, s4                                           // 000000002AEC: BE840004
	v_readfirstlane_b32 s7, v3                                 // 000000002AF0: 7E0E0503
	s_waitcnt lgkmcnt(0)                                       // 000000002AF4: BF8CC07F
	s_and_b32 s49, s49, 0xffff                                 // 000000002AF8: 8631FF31 0000FFFF
	s_load_dword s48, s[48:49], 0x0                            // 000000002B00: C0020C18 00000000
	s_and_b32 s45, s45, 0xffff                                 // 000000002B08: 862DFF2D 0000FFFF
	s_and_b32 s9, s9, 0xffff                                   // 000000002B10: 8609FF09 0000FFFF
	s_mul_i32 s60, s66, s68                                    // 000000002B18: 923C4442
	s_mul_i32 s61, s66, 4                                      // 000000002B1C: 923D8442
	s_mov_b32 s22, s60                                         // 000000002B20: BE96003C
	s_mov_b32 s26, -16                                         // 000000002B24: BE9A00D0
	s_mov_b32 s30, s61                                         // 000000002B28: BE9E003D
	s_mov_b32 s14, 0x100                                       // 000000002B2C: BE8E00FF 00000100
	s_mov_b32 s38, -16                                         // 000000002B34: BEA600D0
	s_mov_b32 s10, -16                                         // 000000002B38: BE8A00D0
	s_mov_b32 s34, 0x400                                       // 000000002B3C: BEA200FF 00000400
	s_mov_b32 s23, 0x20000                                     // 000000002B44: BE9700FF 00020000
	s_mov_b32 s27, 0x20000                                     // 000000002B4C: BE9B00FF 00020000
	s_mov_b32 s31, 0x20000                                     // 000000002B54: BE9F00FF 00020000
	s_mov_b32 s35, 0x20000                                     // 000000002B5C: BEA300FF 00020000
	s_mov_b32 s15, 0x20000                                     // 000000002B64: BE8F00FF 00020000
	s_mov_b32 s39, 0x20000                                     // 000000002B6C: BEA700FF 00020000
	s_mov_b32 s11, 0x20000                                     // 000000002B74: BE8B00FF 00020000
	s_and_b32 s21, s21, 0xffff                                 // 000000002B7C: 8615FF15 0000FFFF
	s_and_b32 s25, s25, 0xffff                                 // 000000002B84: 8619FF19 0000FFFF
	s_and_b32 s29, s29, 0xffff                                 // 000000002B8C: 861DFF1D 0000FFFF
	s_and_b32 s33, s33, 0xffff                                 // 000000002B94: 8621FF21 0000FFFF
	s_and_b32 s13, s13, 0xffff                                 // 000000002B9C: 860DFF0D 0000FFFF
	s_and_b32 s37, s37, 0xffff                                 // 000000002BA4: 8625FF25 0000FFFF
	s_or_b32 s21, s21, 0x40000                                 // 000000002BAC: 8715FF15 00040000
	s_or_b32 s25, s25, 0x40000                                 // 000000002BB4: 8719FF19 00040000
	s_or_b32 s29, s29, 0x40000                                 // 000000002BBC: 871DFF1D 00040000
	s_or_b32 s33, s33, 0x40000                                 // 000000002BC4: 8721FF21 00040000
	s_or_b32 s13, s13, 0x40000                                 // 000000002BCC: 870DFF0D 00040000
	s_or_b32 s37, s37, 0x40000                                 // 000000002BD4: 8725FF25 00040000
	v_accvgpr_write_b32 a127, 0                                // 000000002BDC: D3D9407F 18000080
	v_mov_b32_e32 v183, 0                                      // 000000002BE4: 7F6E0280
	s_waitcnt lgkmcnt(0)                                       // 000000002BE8: BF8CC07F
	s_mul_i32 s60, s3, 64                                      // 000000002BEC: 923CC003
	s_cmp_lt_i32 s60, s48                                      // 000000002BF0: BF04303C
	s_cbranch_scc0 label_267E                                  // 000000002BF4: BF8425FD
	s_mov_b32 s80, 0                                           // 000000002BF8: BED00080
	s_lshr_b32 s81, s64, s88                                   // 000000002BFC: 8F515840
	s_mul_i32 s60, s3, 4                                       // 000000002C00: 923C8403
	s_add_u32 s44, s60, s44                                    // 000000002C04: 802C2C3C
	s_addc_u32 s45, 0, s45                                     // 000000002C08: 822D2D80
	s_load_dword s5, s[44:45], 0x0                             // 000000002C0C: C0020156 00000000
	s_mul_i32 s60, s3, 64                                      // 000000002C14: 923CC003
	s_mul_i32 s60, 4, s60                                      // 000000002C18: 923C3C84
	s_add_u32 s12, s60, s12                                    // 000000002C1C: 800C0C3C
	s_addc_u32 s13, 0, s13                                     // 000000002C20: 820D0D80
	v_and_b32_e32 v4, 15, v0                                   // 000000002C24: 2608008F
	v_lshlrev_b32_e32 v4, 2, v4                                // 000000002C28: 24080882
	buffer_load_dword v28, v4, s[12:15], 0 offen               // 000000002C2C: E0501000 80031C04
	v_add_u32_e32 v4, 64, v4                                   // 000000002C34: 680808C0
	buffer_load_dword v29, v4, s[12:15], 0 offen               // 000000002C38: E0501000 80031D04
	v_add_u32_e32 v4, 64, v4                                   // 000000002C40: 680808C0
	buffer_load_dword v30, v4, s[12:15], 0 offen               // 000000002C44: E0501000 80031E04
	v_add_u32_e32 v4, 64, v4                                   // 000000002C4C: 680808C0
	buffer_load_dword v31, v4, s[12:15], 0 offen               // 000000002C50: E0501000 80031F04
	v_add_u32_e32 v4, 64, v4                                   // 000000002C58: 680808C0
	s_mul_i32 s60, 4, s7                                       // 000000002C5C: 923C0784
	v_lshlrev_b32_e32 v4, 4, v0                                // 000000002C60: 24080084
	v_add_u32_e32 v4, s60, v4                                  // 000000002C64: 6808083C
	buffer_load_dword v3, v4, s[12:15], 0 offen                // 000000002C68: E0501000 80030304
	v_mov_b32_e32 v56, 0                                       // 000000002C70: 7E700280
	v_mov_b32_e32 v120, 0                                      // 000000002C74: 7EF00280
	v_mov_b32_e32 v57, 0                                       // 000000002C78: 7E720280
	v_mov_b32_e32 v121, 0                                      // 000000002C7C: 7EF20280
	v_mov_b32_e32 v58, 0                                       // 000000002C80: 7E740280
	v_mov_b32_e32 v122, 0                                      // 000000002C84: 7EF40280
	v_mov_b32_e32 v59, 0                                       // 000000002C88: 7E760280
	v_mov_b32_e32 v123, 0                                      // 000000002C8C: 7EF60280
	v_mov_b32_e32 v60, 0                                       // 000000002C90: 7E780280
	v_mov_b32_e32 v124, 0                                      // 000000002C94: 7EF80280
	v_mov_b32_e32 v61, 0                                       // 000000002C98: 7E7A0280
	v_mov_b32_e32 v125, 0                                      // 000000002C9C: 7EFA0280
	v_mov_b32_e32 v62, 0                                       // 000000002CA0: 7E7C0280
	v_mov_b32_e32 v126, 0                                      // 000000002CA4: 7EFC0280
	v_mov_b32_e32 v63, 0                                       // 000000002CA8: 7E7E0280
	v_mov_b32_e32 v127, 0                                      // 000000002CAC: 7EFE0280
	v_mov_b32_e32 v64, 0                                       // 000000002CB0: 7E800280
	v_mov_b32_e32 v128, 0                                      // 000000002CB4: 7F000280
	v_mov_b32_e32 v65, 0                                       // 000000002CB8: 7E820280
	v_mov_b32_e32 v129, 0                                      // 000000002CBC: 7F020280
	v_mov_b32_e32 v66, 0                                       // 000000002CC0: 7E840280
	v_mov_b32_e32 v130, 0                                      // 000000002CC4: 7F040280
	v_mov_b32_e32 v67, 0                                       // 000000002CC8: 7E860280
	v_mov_b32_e32 v131, 0                                      // 000000002CCC: 7F060280
	v_mov_b32_e32 v68, 0                                       // 000000002CD0: 7E880280
	v_mov_b32_e32 v132, 0                                      // 000000002CD4: 7F080280
	v_mov_b32_e32 v69, 0                                       // 000000002CD8: 7E8A0280
	v_mov_b32_e32 v133, 0                                      // 000000002CDC: 7F0A0280
	v_mov_b32_e32 v70, 0                                       // 000000002CE0: 7E8C0280
	v_mov_b32_e32 v134, 0                                      // 000000002CE4: 7F0C0280
	v_mov_b32_e32 v71, 0                                       // 000000002CE8: 7E8E0280
	v_mov_b32_e32 v135, 0                                      // 000000002CEC: 7F0E0280
	v_mov_b32_e32 v72, 0                                       // 000000002CF0: 7E900280
	v_mov_b32_e32 v136, 0                                      // 000000002CF4: 7F100280
	v_mov_b32_e32 v73, 0                                       // 000000002CF8: 7E920280
	v_mov_b32_e32 v137, 0                                      // 000000002CFC: 7F120280
	v_mov_b32_e32 v74, 0                                       // 000000002D00: 7E940280
	v_mov_b32_e32 v138, 0                                      // 000000002D04: 7F140280
	v_mov_b32_e32 v75, 0                                       // 000000002D08: 7E960280
	v_mov_b32_e32 v139, 0                                      // 000000002D0C: 7F160280
	v_mov_b32_e32 v76, 0                                       // 000000002D10: 7E980280
	v_mov_b32_e32 v140, 0                                      // 000000002D14: 7F180280
	v_mov_b32_e32 v77, 0                                       // 000000002D18: 7E9A0280
	v_mov_b32_e32 v141, 0                                      // 000000002D1C: 7F1A0280
	v_mov_b32_e32 v78, 0                                       // 000000002D20: 7E9C0280
	v_mov_b32_e32 v142, 0                                      // 000000002D24: 7F1C0280
	v_mov_b32_e32 v79, 0                                       // 000000002D28: 7E9E0280
	v_mov_b32_e32 v143, 0                                      // 000000002D2C: 7F1E0280
	v_mov_b32_e32 v80, 0                                       // 000000002D30: 7EA00280
	v_mov_b32_e32 v144, 0                                      // 000000002D34: 7F200280
	v_mov_b32_e32 v81, 0                                       // 000000002D38: 7EA20280
	v_mov_b32_e32 v145, 0                                      // 000000002D3C: 7F220280
	v_mov_b32_e32 v82, 0                                       // 000000002D40: 7EA40280
	v_mov_b32_e32 v146, 0                                      // 000000002D44: 7F240280
	v_mov_b32_e32 v83, 0                                       // 000000002D48: 7EA60280
	v_mov_b32_e32 v147, 0                                      // 000000002D4C: 7F260280
	v_mov_b32_e32 v84, 0                                       // 000000002D50: 7EA80280
	v_mov_b32_e32 v148, 0                                      // 000000002D54: 7F280280
	v_mov_b32_e32 v85, 0                                       // 000000002D58: 7EAA0280
	v_mov_b32_e32 v149, 0                                      // 000000002D5C: 7F2A0280
	v_mov_b32_e32 v86, 0                                       // 000000002D60: 7EAC0280
	v_mov_b32_e32 v150, 0                                      // 000000002D64: 7F2C0280
	v_mov_b32_e32 v87, 0                                       // 000000002D68: 7EAE0280
	v_mov_b32_e32 v151, 0                                      // 000000002D6C: 7F2E0280
	v_mov_b32_e32 v88, 0                                       // 000000002D70: 7EB00280
	v_mov_b32_e32 v152, 0                                      // 000000002D74: 7F300280
	v_mov_b32_e32 v89, 0                                       // 000000002D78: 7EB20280
	v_mov_b32_e32 v153, 0                                      // 000000002D7C: 7F320280
	v_mov_b32_e32 v90, 0                                       // 000000002D80: 7EB40280
	v_mov_b32_e32 v154, 0                                      // 000000002D84: 7F340280
	v_mov_b32_e32 v91, 0                                       // 000000002D88: 7EB60280
	v_mov_b32_e32 v155, 0                                      // 000000002D8C: 7F360280
	v_mov_b32_e32 v92, 0                                       // 000000002D90: 7EB80280
	v_mov_b32_e32 v156, 0                                      // 000000002D94: 7F380280
	v_mov_b32_e32 v93, 0                                       // 000000002D98: 7EBA0280
	v_mov_b32_e32 v157, 0                                      // 000000002D9C: 7F3A0280
	v_mov_b32_e32 v94, 0                                       // 000000002DA0: 7EBC0280
	v_mov_b32_e32 v158, 0                                      // 000000002DA4: 7F3C0280
	v_mov_b32_e32 v95, 0                                       // 000000002DA8: 7EBE0280
	v_mov_b32_e32 v159, 0                                      // 000000002DAC: 7F3E0280
	v_mov_b32_e32 v96, 0                                       // 000000002DB0: 7EC00280
	v_mov_b32_e32 v160, 0                                      // 000000002DB4: 7F400280
	v_mov_b32_e32 v97, 0                                       // 000000002DB8: 7EC20280
	v_mov_b32_e32 v161, 0                                      // 000000002DBC: 7F420280
	v_mov_b32_e32 v98, 0                                       // 000000002DC0: 7EC40280
	v_mov_b32_e32 v162, 0                                      // 000000002DC4: 7F440280
	v_mov_b32_e32 v99, 0                                       // 000000002DC8: 7EC60280
	v_mov_b32_e32 v163, 0                                      // 000000002DCC: 7F460280
	v_mov_b32_e32 v100, 0                                      // 000000002DD0: 7EC80280
	v_mov_b32_e32 v164, 0                                      // 000000002DD4: 7F480280
	v_mov_b32_e32 v101, 0                                      // 000000002DD8: 7ECA0280
	v_mov_b32_e32 v165, 0                                      // 000000002DDC: 7F4A0280
	v_mov_b32_e32 v102, 0                                      // 000000002DE0: 7ECC0280
	v_mov_b32_e32 v166, 0                                      // 000000002DE4: 7F4C0280
	v_mov_b32_e32 v103, 0                                      // 000000002DE8: 7ECE0280
	v_mov_b32_e32 v167, 0                                      // 000000002DEC: 7F4E0280
	v_mov_b32_e32 v104, 0                                      // 000000002DF0: 7ED00280
	v_mov_b32_e32 v168, 0                                      // 000000002DF4: 7F500280
	v_mov_b32_e32 v105, 0                                      // 000000002DF8: 7ED20280
	v_mov_b32_e32 v169, 0                                      // 000000002DFC: 7F520280
	v_mov_b32_e32 v106, 0                                      // 000000002E00: 7ED40280
	v_mov_b32_e32 v170, 0                                      // 000000002E04: 7F540280
	v_mov_b32_e32 v107, 0                                      // 000000002E08: 7ED60280
	v_mov_b32_e32 v171, 0                                      // 000000002E0C: 7F560280
	v_mov_b32_e32 v108, 0                                      // 000000002E10: 7ED80280
	v_mov_b32_e32 v172, 0                                      // 000000002E14: 7F580280
	v_mov_b32_e32 v109, 0                                      // 000000002E18: 7EDA0280
	v_mov_b32_e32 v173, 0                                      // 000000002E1C: 7F5A0280
	v_mov_b32_e32 v110, 0                                      // 000000002E20: 7EDC0280
	v_mov_b32_e32 v174, 0                                      // 000000002E24: 7F5C0280
	v_mov_b32_e32 v111, 0                                      // 000000002E28: 7EDE0280
	v_mov_b32_e32 v175, 0                                      // 000000002E2C: 7F5E0280
	v_mov_b32_e32 v112, 0                                      // 000000002E30: 7EE00280
	v_mov_b32_e32 v176, 0                                      // 000000002E34: 7F600280
	v_mov_b32_e32 v113, 0                                      // 000000002E38: 7EE20280
	v_mov_b32_e32 v177, 0                                      // 000000002E3C: 7F620280
	v_mov_b32_e32 v114, 0                                      // 000000002E40: 7EE40280
	v_mov_b32_e32 v178, 0                                      // 000000002E44: 7F640280
	v_mov_b32_e32 v115, 0                                      // 000000002E48: 7EE60280
	v_mov_b32_e32 v179, 0                                      // 000000002E4C: 7F660280
	v_mov_b32_e32 v116, 0                                      // 000000002E50: 7EE80280
	v_mov_b32_e32 v180, 0                                      // 000000002E54: 7F680280
	v_mov_b32_e32 v117, 0                                      // 000000002E58: 7EEA0280
	v_mov_b32_e32 v181, 0                                      // 000000002E5C: 7F6A0280
	v_mov_b32_e32 v118, 0                                      // 000000002E60: 7EEC0280
	v_mov_b32_e32 v182, 0                                      // 000000002E64: 7F6C0280
	v_mov_b32_e32 v119, 0                                      // 000000002E68: 7EEE0280
	v_mov_b32_e32 v183, 0                                      // 000000002E6C: 7F6E0280
	s_mul_i32 s60, s2, 0x200                                   // 000000002E70: 923CFF02 00000200
	s_cmp_eq_u32 s88, 0                                        // 000000002E78: BF068058
	s_cselect_b32 s61, 1, 2                                    // 000000002E7C: 853D8281
	s_mul_i32 s60, s60, s61                                    // 000000002E80: 923C3D3C
	s_mov_b32 s90, s8                                          // 000000002E84: BEDA0008
	s_mov_b32 s91, s9                                          // 000000002E88: BEDB0009
	s_add_u32 s8, s60, s8                                      // 000000002E8C: 8008083C
	s_addc_u32 s9, 0, s9                                       // 000000002E90: 82090980
	v_lshrrev_b32_e32 v4, 4, v0                                // 000000002E94: 20080084
	v_mul_lo_u32 v20, 34, v4                                   // 000000002E98: D2850014 000208A2
	v_and_b32_e32 v4, 15, v0                                   // 000000002EA0: 2608008F
	v_mul_lo_u32 v5, 2, v4                                     // 000000002EA4: D2850005 00020882
	v_add_u32_e32 v20, v5, v20                                 // 000000002EAC: 68282905
	s_mul_i32 s60, s7, 0x88                                    // 000000002EB0: 923CFF07 00000088
	v_add_u32_e32 v20, s60, v20                                // 000000002EB8: 6828283C
	v_lshlrev_b32_e32 v20, 2, v20                              // 000000002EBC: 24282882
	v_and_b32_e32 v4, 31, v0                                   // 000000002EC0: 2608009F
	v_lshrrev_b32_e32 v4, 1, v4                                // 000000002EC4: 20080881
	v_mul_lo_u32 v21, 34, v4                                   // 000000002EC8: D2850015 000208A2
	v_lshrrev_b32_e32 v4, 5, v0                                // 000000002ED0: 20080085
	v_mul_lo_u32 v4, 8, v4                                     // 000000002ED4: D2850004 00020888
	v_add_u32_e32 v21, v21, v4                                 // 000000002EDC: 682A0915
	v_and_b32_e32 v5, 1, v0                                    // 000000002EE0: 260A0081
	v_add_u32_e32 v21, v5, v21                                 // 000000002EE4: 682A2B05
	s_mul_i32 s60, s7, 2                                       // 000000002EE8: 923C8207
	v_add_u32_e32 v21, s60, v21                                // 000000002EEC: 682A2A3C
	v_lshlrev_b32_e32 v21, 2, v21                              // 000000002EF0: 242A2A82
	s_mul_i32 s60, s7, 0x820                                   // 000000002EF4: 923CFF07 00000820
	s_add_u32 s48, 0, s60                                      // 000000002EFC: 80303C80
	s_add_u32 s49, 0x2080, s48                                 // 000000002F00: 803130FF 00002080
	v_lshrrev_b32_e32 v4, 4, v0                                // 000000002F08: 20080084
	v_lshlrev_b32_e32 v5, 2, v4                                // 000000002F0C: 240A0882
	v_and_b32_e32 v4, 15, v0                                   // 000000002F10: 2608008F
	v_lshrrev_b32_e32 v6, 2, v4                                // 000000002F14: 200C0882
	v_lshlrev_b32_e32 v6, 5, v6                                // 000000002F18: 240C0C85
	v_add_u32_e32 v5, v6, v5                                   // 000000002F1C: 680A0B06
	v_and_b32_e32 v4, 3, v0                                    // 000000002F20: 26080083
	v_mul_u32_u24_e32 v6, 0x208, v4                            // 000000002F24: 100C08FF 00000208
	v_add_u32_e32 v5, v6, v5                                   // 000000002F2C: 680A0B06
	v_lshlrev_b32_e32 v2, 2, v5                                // 000000002F30: 24040A82
	s_waitcnt lgkmcnt(0)                                       // 000000002F34: BF8CC07F
	s_mul_i32 s60, s2, 0x100                                   // 000000002F38: 923CFF02 00000100
	s_mul_i32 s60, s60, s69                                    // 000000002F40: 923C453C
	s_mul_i32 s61, s5, s72                                     // 000000002F44: 923D4805
	s_add_u32 s60, s61, s60                                    // 000000002F48: 803C3C3D
	s_add_u32 s24, s60, s24                                    // 000000002F4C: 8018183C
	s_addc_u32 s25, 0, s25                                     // 000000002F50: 82191980
	s_lshr_b32 s60, s64, s88                                   // 000000002F54: 8F3C5840
	s_mul_i32 s60, s4, s60                                     // 000000002F58: 923C3C04
	s_lshr_b32 s60, s60, 7                                     // 000000002F5C: 8F3C873C
	s_mul_i32 s60, s60, 0x800                                  // 000000002F60: 923CFF3C 00000800
	s_add_u32 s24, s60, s24                                    // 000000002F68: 8018183C
	s_addc_u32 s25, 0, s25                                     // 000000002F6C: 82191980
	s_lshr_b32 s60, s69, s88                                   // 000000002F70: 8F3C5845
	s_mul_i32 s60, s4, s60                                     // 000000002F74: 923C3C04
	s_add_u32 s20, s60, s20                                    // 000000002F78: 8014143C
	s_addc_u32 s21, 0, s21                                     // 000000002F7C: 82151580
	s_mul_i32 s60, s7, 16                                      // 000000002F80: 923C9007
	s_mul_i32 s60, s60, s69                                    // 000000002F84: 923C453C
	v_lshlrev_b32_e32 v52, 4, v0                               // 000000002F88: 24680084
	v_add_u32_e32 v52, s60, v52                                // 000000002F8C: 6868683C
	s_mul_i32 s60, 64, s69                                     // 000000002F90: 923C45C0
	v_add_u32_e32 v53, s60, v52                                // 000000002F94: 686A683C
	v_add_u32_e32 v54, s60, v53                                // 000000002F98: 686C6A3C
	v_add_u32_e32 v55, s60, v54                                // 000000002F9C: 686E6C3C
	s_mov_b32 s84, s24                                         // 000000002FA0: BED40018
	s_mov_b32 s85, s25                                         // 000000002FA4: BED50019
	s_mov_b32 s86, s26                                         // 000000002FA8: BED6001A
	s_mov_b32 s87, s27                                         // 000000002FAC: BED7001B
	s_mul_i32 s60, s69, s65                                    // 000000002FB0: 923C4145
	s_add_u32 s84, s60, s84                                    // 000000002FB4: 8054543C
	s_addc_u32 s85, 0, s85                                     // 000000002FB8: 82555580
	v_lshrrev_b32_e32 v4, 4, v0                                // 000000002FBC: 20080084
	v_lshlrev_b32_e32 v5, 2, v4                                // 000000002FC0: 240A0882
	v_and_b32_e32 v4, 15, v0                                   // 000000002FC4: 2608008F
	v_lshrrev_b32_e32 v6, 2, v4                                // 000000002FC8: 200C0882
	v_lshlrev_b32_e32 v6, 6, v6                                // 000000002FCC: 240C0C86
	v_add_u32_e32 v5, v6, v5                                   // 000000002FD0: 680A0B06
	v_and_b32_e32 v4, 3, v0                                    // 000000002FD4: 26080083
	v_add_u32_e32 v5, v4, v5                                   // 000000002FD8: 680A0B04
	v_lshlrev_b32_e32 v22, 2, v5                               // 000000002FDC: 242C0A82
	s_mul_i32 s60, s7, 16                                      // 000000002FE0: 923C9007
	s_mul_i32 s60, s60, 4                                      // 000000002FE4: 923C843C
	v_add_u32_e32 v22, s60, v22                                // 000000002FE8: 682C2C3C
	s_mul_i32 s60, s2, 0x100                                   // 000000002FEC: 923CFF02 00000100
	s_mul_i32 s60, s60, 4                                      // 000000002FF4: 923C843C
	s_mul_i32 s61, s5, s74                                     // 000000002FF8: 923D4A05
	s_add_u32 s61, s61, s60                                    // 000000002FFC: 803D3C3D
	s_add_u32 s32, s61, s32                                    // 000000003000: 8020203D
	s_addc_u32 s33, 0, s33                                     // 000000003004: 82212180
	s_mov_b32 s57, 0x80                                        // 000000003008: BEB900FF 00000080
	s_mov_b32 s58, 0x800                                       // 000000003010: BEBA00FF 00000800
	s_mov_b32 s83, s58                                         // 000000003018: BED3003A
	s_mov_b32 s52, 0x7060302                                   // 00000000301C: BEB400FF 07060302
	s_mov_b32 s53, 0x400                                       // 000000003024: BEB500FF 00000400
	s_mov_b32 s54, 0x40100                                     // 00000000302C: BEB600FF 00040100
	s_mov_b32 s55, 0x4020100                                   // 000000003034: BEB700FF 04020100
	s_mov_b32 s6, 0x3fb8aa3b                                   // 00000000303C: BE8600FF 3FB8AA3B
	s_mov_b32 s78, 0xbd92220c                                  // 000000003044: BECE00FF BD92220C
	s_mov_b32 s79, 0xbd92220c                                  // 00000000304C: BECF00FF BD92220C
	s_mov_b32 m0, s48                                          // 000000003054: BEFC0030
	v_mov_b32_e32 v1, 0xbfcc4231                               // 000000003058: 7E0202FF BFCC4231
	v_mov_b32_e32 v17, 0xffff0000                              // 000000003060: 7E2202FF FFFF0000
	v_mov_b32_e32 v18, 0x7fff0000                              // 000000003068: 7E2402FF 7FFF0000
	v_mov_b32_e32 v19, 0x7fff                                  // 000000003070: 7E2602FF 00007FFF
	s_waitcnt vmcnt(0) expcnt(0) lgkmcnt(0)                    // 000000003078: BF8C0000
	v_lshrrev_b32_e32 v4, 5, v0                                // 00000000307C: 20080085
	v_xor_b32_e32 v5, 1, v4                                    // 000000003080: 2A0A0881
	v_readlane_b32 s82, v3, 0                                  // 000000003084: D2890052 00010103
	s_and_b32 s82, s82, 0xffffff                               // 00000000308C: 8652FF52 00FFFFFF
	v_mul_lo_u32 v6, v5, s82                                   // 000000003094: D2850006 0000A505
	v_readlane_b32 s82, v3, 1                                  // 00000000309C: D2890052 00010303
	s_and_b32 s82, s82, 0xffffff                               // 0000000030A4: 8652FF52 00FFFFFF
	v_mul_lo_u32 v7, v4, s82                                   // 0000000030AC: D2850007 0000A504
	v_add_u32_e32 v44, v6, v7                                  // 0000000030B4: 68580F06
	v_mul_lo_u32 v44, v44, s68                                 // 0000000030B8: D285002C 0000892C
	v_readlane_b32 s82, v3, 2                                  // 0000000030C0: D2890052 00010503
	s_and_b32 s82, s82, 0xffffff                               // 0000000030C8: 8652FF52 00FFFFFF
	v_mul_lo_u32 v6, v5, s82                                   // 0000000030D0: D2850006 0000A505
	v_readlane_b32 s82, v3, 3                                  // 0000000030D8: D2890052 00010703
	s_and_b32 s82, s82, 0xffffff                               // 0000000030E0: 8652FF52 00FFFFFF
	v_mul_lo_u32 v7, v4, s82                                   // 0000000030E8: D2850007 0000A504
	v_add_u32_e32 v45, v6, v7                                  // 0000000030F0: 685A0F06
	v_mul_lo_u32 v45, v45, s68                                 // 0000000030F4: D285002D 0000892D
	v_readlane_b32 s82, v3, 4                                  // 0000000030FC: D2890052 00010903
	s_and_b32 s82, s82, 0xffffff                               // 000000003104: 8652FF52 00FFFFFF
	v_mul_lo_u32 v6, v5, s82                                   // 00000000310C: D2850006 0000A505
	v_readlane_b32 s82, v3, 5                                  // 000000003114: D2890052 00010B03
	s_and_b32 s82, s82, 0xffffff                               // 00000000311C: 8652FF52 00FFFFFF
	v_mul_lo_u32 v7, v4, s82                                   // 000000003124: D2850007 0000A504
	v_add_u32_e32 v46, v6, v7                                  // 00000000312C: 685C0F06
	v_mul_lo_u32 v46, v46, s68                                 // 000000003130: D285002E 0000892E
	v_readlane_b32 s82, v3, 6                                  // 000000003138: D2890052 00010D03
	s_and_b32 s82, s82, 0xffffff                               // 000000003140: 8652FF52 00FFFFFF
	v_mul_lo_u32 v6, v5, s82                                   // 000000003148: D2850006 0000A505
	v_readlane_b32 s82, v3, 7                                  // 000000003150: D2890052 00010F03
	s_and_b32 s82, s82, 0xffffff                               // 000000003158: 8652FF52 00FFFFFF
	v_mul_lo_u32 v7, v4, s82                                   // 000000003160: D2850007 0000A504
	v_add_u32_e32 v47, v6, v7                                  // 000000003168: 685E0F06
	v_mul_lo_u32 v47, v47, s68                                 // 00000000316C: D285002F 0000892F
	v_readlane_b32 s82, v3, 8                                  // 000000003174: D2890052 00011103
	s_and_b32 s82, s82, 0xffffff                               // 00000000317C: 8652FF52 00FFFFFF
	v_mul_lo_u32 v6, v5, s82                                   // 000000003184: D2850006 0000A505
	v_readlane_b32 s82, v3, 9                                  // 00000000318C: D2890052 00011303
	s_and_b32 s82, s82, 0xffffff                               // 000000003194: 8652FF52 00FFFFFF
	v_mul_lo_u32 v7, v4, s82                                   // 00000000319C: D2850007 0000A504
	v_add_u32_e32 v48, v6, v7                                  // 0000000031A4: 68600F06
	v_mul_lo_u32 v48, v48, s68                                 // 0000000031A8: D2850030 00008930
	v_readlane_b32 s82, v3, 10                                 // 0000000031B0: D2890052 00011503
	s_and_b32 s82, s82, 0xffffff                               // 0000000031B8: 8652FF52 00FFFFFF
	v_mul_lo_u32 v6, v5, s82                                   // 0000000031C0: D2850006 0000A505
	v_readlane_b32 s82, v3, 11                                 // 0000000031C8: D2890052 00011703
	s_and_b32 s82, s82, 0xffffff                               // 0000000031D0: 8652FF52 00FFFFFF
	v_mul_lo_u32 v7, v4, s82                                   // 0000000031D8: D2850007 0000A504
	v_add_u32_e32 v49, v6, v7                                  // 0000000031E0: 68620F06
	v_mul_lo_u32 v49, v49, s68                                 // 0000000031E4: D2850031 00008931
	v_readlane_b32 s82, v3, 12                                 // 0000000031EC: D2890052 00011903
	s_and_b32 s82, s82, 0xffffff                               // 0000000031F4: 8652FF52 00FFFFFF
	v_mul_lo_u32 v6, v5, s82                                   // 0000000031FC: D2850006 0000A505
	v_readlane_b32 s82, v3, 13                                 // 000000003204: D2890052 00011B03
	s_and_b32 s82, s82, 0xffffff                               // 00000000320C: 8652FF52 00FFFFFF
	v_mul_lo_u32 v7, v4, s82                                   // 000000003214: D2850007 0000A504
	v_add_u32_e32 v50, v6, v7                                  // 00000000321C: 68640F06
	v_mul_lo_u32 v50, v50, s68                                 // 000000003220: D2850032 00008932
	v_readlane_b32 s82, v3, 14                                 // 000000003228: D2890052 00011D03
	s_and_b32 s82, s82, 0xffffff                               // 000000003230: 8652FF52 00FFFFFF
	v_mul_lo_u32 v6, v5, s82                                   // 000000003238: D2850006 0000A505
	v_readlane_b32 s82, v3, 15                                 // 000000003240: D2890052 00011F03
	s_and_b32 s82, s82, 0xffffff                               // 000000003248: 8652FF52 00FFFFFF
	v_mul_lo_u32 v7, v4, s82                                   // 000000003250: D2850007 0000A504
	v_add_u32_e32 v51, v6, v7                                  // 000000003258: 68660F06
	v_mul_lo_u32 v51, v51, s68                                 // 00000000325C: D2850033 00008933
	v_and_b32_e32 v4, 31, v0                                   // 000000003264: 2608009F
	v_lshlrev_b32_e32 v4, 2, v4                                // 000000003268: 24080882
	v_add_u32_e32 v44, v44, v4                                 // 00000000326C: 6858092C
	v_add_u32_e32 v45, v45, v4                                 // 000000003270: 685A092D
	v_add_u32_e32 v46, v46, v4                                 // 000000003274: 685C092E
	v_add_u32_e32 v47, v47, v4                                 // 000000003278: 685E092F
	v_add_u32_e32 v48, v48, v4                                 // 00000000327C: 68600930
	v_add_u32_e32 v49, v49, v4                                 // 000000003280: 68620931
	v_add_u32_e32 v50, v50, v4                                 // 000000003284: 68640932
	;; [unrolled: 1-line block ×3, first 2 shown]
	v_and_b32_e32 v28, 0xffffff, v28                           // 00000000328C: 263838FF 00FFFFFF
	v_lshlrev_b32_e32 v28, 2, v28                              // 000000003294: 24383882
	v_and_b32_e32 v29, 0xffffff, v29                           // 000000003298: 263A3AFF 00FFFFFF
	v_lshlrev_b32_e32 v29, 2, v29                              // 0000000032A0: 243A3A82
	v_and_b32_e32 v30, 0xffffff, v30                           // 0000000032A4: 263C3CFF 00FFFFFF
	v_lshlrev_b32_e32 v30, 2, v30                              // 0000000032AC: 243C3C82
	v_and_b32_e32 v31, 0xffffff, v31                           // 0000000032B0: 263E3EFF 00FFFFFF
	v_lshlrev_b32_e32 v31, 2, v31                              // 0000000032B8: 243E3E82
	s_lshl_b32 s3, s66, 2                                      // 0000000032BC: 8E038242
	buffer_load_dword v32, v28, s[28:31], 0 offen              // 0000000032C0: E0501000 8007201C
	buffer_load_dword v33, v29, s[28:31], 0 offen              // 0000000032C8: E0501000 8007211D
	buffer_load_dword v34, v30, s[28:31], 0 offen              // 0000000032D0: E0501000 8007221E
	buffer_load_dword v35, v31, s[28:31], 0 offen              // 0000000032D8: E0501000 8007231F
	buffer_load_dword v24, v22, s[32:35], 0 offen              // 0000000032E0: E0501000 80081816
	s_mul_i32 s60, 4, s65                                      // 0000000032E8: 923C4184
	s_add_u32 s32, s60, s32                                    // 0000000032EC: 8020203C
	s_addc_u32 s33, 0, s33                                     // 0000000032F0: 82212180
	buffer_load_dword v26, v22, s[32:35], 0 offen              // 0000000032F4: E0501000 80081A16
	buffer_load_dword v44, s[20:23], 0 offen lds               // 0000000032FC: E0511000 8005002C
	s_add_u32 m0, 0x100, s48                                   // 000000003304: 807C30FF 00000100
	buffer_load_dword v45, s[20:23], 0 offen lds               // 00000000330C: E0511000 8005002D
	s_add_u32 m0, 0x200, s48                                   // 000000003314: 807C30FF 00000200
	buffer_load_dword v46, s[20:23], 0 offen lds               // 00000000331C: E0511000 8005002E
	s_add_u32 m0, 0x300, s48                                   // 000000003324: 807C30FF 00000300
	buffer_load_dword v47, s[20:23], 0 offen lds               // 00000000332C: E0511000 8005002F
	s_add_u32 m0, 0x400, s48                                   // 000000003334: 807C30FF 00000400
	buffer_load_dword v48, s[20:23], 0 offen lds               // 00000000333C: E0511000 80050030
	s_add_u32 m0, 0x500, s48                                   // 000000003344: 807C30FF 00000500
	buffer_load_dword v49, s[20:23], 0 offen lds               // 00000000334C: E0511000 80050031
	s_add_u32 m0, 0x600, s48                                   // 000000003354: 807C30FF 00000600
	buffer_load_dword v50, s[20:23], 0 offen lds               // 00000000335C: E0511000 80050032
	s_add_u32 m0, 0x700, s48                                   // 000000003364: 807C30FF 00000700
	buffer_load_dword v51, s[20:23], 0 offen lds               // 00000000336C: E0511000 80050033
	s_add_u32 m0, 0, s49                                       // 000000003374: 807C3180
	s_add_u32 s20, s57, s20                                    // 000000003378: 80141439
	s_addc_u32 s21, 0, s21                                     // 00000000337C: 82151580
	buffer_load_dword v44, s[20:23], 0 offen lds               // 000000003380: E0511000 8005002C
	s_add_u32 m0, 0x100, s49                                   // 000000003388: 807C31FF 00000100
	buffer_load_dword v45, s[20:23], 0 offen lds               // 000000003390: E0511000 8005002D
	s_add_u32 m0, 0x200, s49                                   // 000000003398: 807C31FF 00000200
	buffer_load_dword v46, s[20:23], 0 offen lds               // 0000000033A0: E0511000 8005002E
	s_add_u32 m0, 0x300, s49                                   // 0000000033A8: 807C31FF 00000300
	buffer_load_dword v47, s[20:23], 0 offen lds               // 0000000033B0: E0511000 8005002F
	s_add_u32 m0, 0x400, s49                                   // 0000000033B8: 807C31FF 00000400
	buffer_load_dword v48, s[20:23], 0 offen lds               // 0000000033C0: E0511000 80050030
	s_add_u32 m0, 0x500, s49                                   // 0000000033C8: 807C31FF 00000500
	buffer_load_dword v49, s[20:23], 0 offen lds               // 0000000033D0: E0511000 80050031
	s_add_u32 m0, 0x600, s49                                   // 0000000033D8: 807C31FF 00000600
	buffer_load_dword v50, s[20:23], 0 offen lds               // 0000000033E0: E0511000 80050032
	s_add_u32 m0, 0x700, s49                                   // 0000000033E8: 807C31FF 00000700
	buffer_load_dword v51, s[20:23], 0 offen lds               // 0000000033F0: E0511000 80050033
	s_add_u32 m0, 0, s48                                       // 0000000033F8: 807C3080
	s_add_u32 s20, s57, s20                                    // 0000000033FC: 80141439
	s_addc_u32 s21, 0, s21                                     // 000000003400: 82151580
	buffer_load_dwordx4 a[64:67], v52, s[24:27], 0 offen       // 000000003404: E05C1000 80864034
	buffer_load_dwordx4 a[68:71], v52, s[24:27], 0 offen offset:1024// 00000000340C: E05C1400 80864434
	buffer_load_dwordx4 a[72:75], v53, s[24:27], 0 offen       // 000000003414: E05C1000 80864835
	buffer_load_dwordx4 a[76:79], v53, s[24:27], 0 offen offset:1024// 00000000341C: E05C1400 80864C35
	buffer_load_dwordx4 a[80:83], v54, s[24:27], 0 offen       // 000000003424: E05C1000 80865036
	buffer_load_dwordx4 a[84:87], v54, s[24:27], 0 offen offset:1024// 00000000342C: E05C1400 80865436
	buffer_load_dwordx4 a[88:91], v55, s[24:27], 0 offen       // 000000003434: E05C1000 80865837
	buffer_load_dwordx4 a[92:95], v55, s[24:27], 0 offen offset:1024// 00000000343C: E05C1400 80865C37
	s_add_u32 s24, s58, s24                                    // 000000003444: 8018183A
	s_addc_u32 s25, 0, s25                                     // 000000003448: 82191980
	s_waitcnt vmcnt(16)                                        // 00000000344C: BF8C4F70
	s_barrier                                                  // 000000003450: BF8A0000
	ds_read_b128 a[0:3], v2                                    // 000000003454: DBFE0000 00000002
	ds_read_b128 a[4:7], v2 offset:64                          // 00000000345C: DBFE0040 04000002
	ds_read_b128 a[8:11], v2 offset:512                        // 000000003464: DBFE0200 08000002
	ds_read_b128 a[12:15], v2 offset:576                       // 00000000346C: DBFE0240 0C000002
	ds_read_b128 a[16:19], v2 offset:1024                      // 000000003474: DBFE0400 10000002
	ds_read_b128 a[20:23], v2 offset:1088                      // 00000000347C: DBFE0440 14000002
	ds_read_b128 a[24:27], v2 offset:1536                      // 000000003484: DBFE0600 18000002
	ds_read_b128 a[28:31], v2 offset:1600                      // 00000000348C: DBFE0640 1C000002
	s_cmp_lt_i32 s7, 2                                         // 000000003494: BF048207
	s_cbranch_scc0 label_1494                                  // 000000003498: BF8411EA

000000000000349c <label_02A7>:
	s_waitcnt vmcnt(6) lgkmcnt(0)                              // 00000000349C: BF8C0076
	s_barrier                                                  // 0000000034A0: BF8A0000
	v_mfma_f32_16x16x32_fp8_fp8 v[56:59], a[64:65], a[0:1], v[56:59]// 0000000034A4: D3F30038 1CE20140
	v_mfma_f32_16x16x32_fp8_fp8 v[56:59], a[66:67], a[2:3], v[56:59]// 0000000034AC: D3F30038 1CE20542
	buffer_load_dwordx4 a[96:99], v52, s[84:87], 0 offen       // 0000000034B4: E05C1000 80956034
	v_mfma_f32_16x16x32_fp8_fp8 v[56:59], a[68:69], a[4:5], v[56:59]// 0000000034BC: D3F30038 1CE20944
	v_mfma_f32_16x16x32_fp8_fp8 v[56:59], a[70:71], a[6:7], v[56:59]// 0000000034C4: D3F30038 1CE20D46
	v_mfma_f32_16x16x32_fp8_fp8 v[60:63], a[64:65], a[8:9], v[60:63]// 0000000034CC: D3F3003C 1CF21140
	v_mfma_f32_16x16x32_fp8_fp8 v[60:63], a[66:67], a[10:11], v[60:63]// 0000000034D4: D3F3003C 1CF21542
	buffer_load_dwordx4 a[100:103], v52, s[84:87], 0 offen offset:1024// 0000000034DC: E05C1400 80956434
	v_mfma_f32_16x16x32_fp8_fp8 v[60:63], a[68:69], a[12:13], v[60:63]// 0000000034E4: D3F3003C 1CF21944
	v_mfma_f32_16x16x32_fp8_fp8 v[60:63], a[70:71], a[14:15], v[60:63]// 0000000034EC: D3F3003C 1CF21D46
	v_mfma_f32_16x16x32_fp8_fp8 v[64:67], a[64:65], a[16:17], v[64:67]// 0000000034F4: D3F30040 1D022140
	v_mfma_f32_16x16x32_fp8_fp8 v[64:67], a[66:67], a[18:19], v[64:67]// 0000000034FC: D3F30040 1D022542
	buffer_load_dwordx4 a[104:107], v53, s[84:87], 0 offen     // 000000003504: E05C1000 80956835
	v_mfma_f32_16x16x32_fp8_fp8 v[64:67], a[68:69], a[20:21], v[64:67]// 00000000350C: D3F30040 1D022944
	v_mfma_f32_16x16x32_fp8_fp8 v[64:67], a[70:71], a[22:23], v[64:67]// 000000003514: D3F30040 1D022D46
	v_mfma_f32_16x16x32_fp8_fp8 v[68:71], a[64:65], a[24:25], v[68:71]// 00000000351C: D3F30044 1D123140
	v_mfma_f32_16x16x32_fp8_fp8 v[68:71], a[66:67], a[26:27], v[68:71]// 000000003524: D3F30044 1D123542
	buffer_load_dwordx4 a[108:111], v53, s[84:87], 0 offen offset:1024// 00000000352C: E05C1400 80956C35
	v_mfma_f32_16x16x32_fp8_fp8 v[68:71], a[68:69], a[28:29], v[68:71]// 000000003534: D3F30044 1D123944
	v_mfma_f32_16x16x32_fp8_fp8 v[68:71], a[70:71], a[30:31], v[68:71]// 00000000353C: D3F30044 1D123D46
	s_waitcnt vmcnt(8)                                         // 000000003544: BF8C0F78
	v_mfma_f32_16x16x32_fp8_fp8 v[72:75], a[72:73], a[0:1], v[72:75]// 000000003548: D3F30048 1D220148
	v_mfma_f32_16x16x32_fp8_fp8 v[72:75], a[74:75], a[2:3], v[72:75]// 000000003550: D3F30048 1D22054A
	buffer_load_dwordx4 a[112:115], v54, s[84:87], 0 offen     // 000000003558: E05C1000 80957036
	v_mfma_f32_16x16x32_fp8_fp8 v[72:75], a[76:77], a[4:5], v[72:75]// 000000003560: D3F30048 1D22094C
	v_mfma_f32_16x16x32_fp8_fp8 v[72:75], a[78:79], a[6:7], v[72:75]// 000000003568: D3F30048 1D220D4E
	v_mfma_f32_16x16x32_fp8_fp8 v[76:79], a[72:73], a[8:9], v[76:79]// 000000003570: D3F3004C 1D321148
	v_mfma_f32_16x16x32_fp8_fp8 v[76:79], a[74:75], a[10:11], v[76:79]// 000000003578: D3F3004C 1D32154A
	buffer_load_dwordx4 a[116:119], v54, s[84:87], 0 offen offset:1024// 000000003580: E05C1400 80957436
	v_mfma_f32_16x16x32_fp8_fp8 v[76:79], a[76:77], a[12:13], v[76:79]// 000000003588: D3F3004C 1D32194C
	v_mfma_f32_16x16x32_fp8_fp8 v[76:79], a[78:79], a[14:15], v[76:79]// 000000003590: D3F3004C 1D321D4E
	v_mfma_f32_16x16x32_fp8_fp8 v[80:83], a[72:73], a[16:17], v[80:83]// 000000003598: D3F30050 1D422148
	v_mfma_f32_16x16x32_fp8_fp8 v[80:83], a[74:75], a[18:19], v[80:83]// 0000000035A0: D3F30050 1D42254A
	buffer_load_dwordx4 a[120:123], v55, s[84:87], 0 offen     // 0000000035A8: E05C1000 80957837
	v_mfma_f32_16x16x32_fp8_fp8 v[80:83], a[76:77], a[20:21], v[80:83]// 0000000035B0: D3F30050 1D42294C
	v_mfma_f32_16x16x32_fp8_fp8 v[80:83], a[78:79], a[22:23], v[80:83]// 0000000035B8: D3F30050 1D422D4E
	v_mfma_f32_16x16x32_fp8_fp8 v[84:87], a[72:73], a[24:25], v[84:87]// 0000000035C0: D3F30054 1D523148
	v_mfma_f32_16x16x32_fp8_fp8 v[84:87], a[74:75], a[26:27], v[84:87]// 0000000035C8: D3F30054 1D52354A
	buffer_load_dwordx4 a[124:127], v55, s[84:87], 0 offen offset:1024// 0000000035D0: E05C1400 80957C37
	buffer_load_dword v44, s[20:23], 0 offen lds               // 0000000035D8: E0511000 8005002C
	s_add_u32 m0, 0x100, s48                                   // 0000000035E0: 807C30FF 00000100
	v_mfma_f32_16x16x32_fp8_fp8 v[84:87], a[76:77], a[28:29], v[84:87]// 0000000035E8: D3F30054 1D52394C
	v_mfma_f32_16x16x32_fp8_fp8 v[84:87], a[78:79], a[30:31], v[84:87]// 0000000035F0: D3F30054 1D523D4E
	buffer_load_dword v45, s[20:23], 0 offen lds               // 0000000035F8: E0511000 8005002D
	s_add_u32 m0, 0x200, s48                                   // 000000003600: 807C30FF 00000200
	s_waitcnt vmcnt(12)                                        // 000000003608: BF8C0F7C
	v_mfma_f32_16x16x32_fp8_fp8 v[88:91], a[80:81], a[0:1], v[88:91]// 00000000360C: D3F30058 1D620150
	v_mfma_f32_16x16x32_fp8_fp8 v[88:91], a[82:83], a[2:3], v[88:91]// 000000003614: D3F30058 1D620552
	buffer_load_dword v46, s[20:23], 0 offen lds               // 00000000361C: E0511000 8005002E
	s_add_u32 m0, 0x300, s48                                   // 000000003624: 807C30FF 00000300
	v_mfma_f32_16x16x32_fp8_fp8 v[88:91], a[84:85], a[4:5], v[88:91]// 00000000362C: D3F30058 1D620954
	v_mfma_f32_16x16x32_fp8_fp8 v[88:91], a[86:87], a[6:7], v[88:91]// 000000003634: D3F30058 1D620D56
	buffer_load_dword v47, s[20:23], 0 offen lds               // 00000000363C: E0511000 8005002F
	s_add_u32 m0, 0x400, s48                                   // 000000003644: 807C30FF 00000400
	v_mfma_f32_16x16x32_fp8_fp8 v[92:95], a[80:81], a[8:9], v[92:95]// 00000000364C: D3F3005C 1D721150
	v_mfma_f32_16x16x32_fp8_fp8 v[92:95], a[82:83], a[10:11], v[92:95]// 000000003654: D3F3005C 1D721552
	buffer_load_dword v48, s[20:23], 0 offen lds               // 00000000365C: E0511000 80050030
	s_add_u32 m0, 0x500, s48                                   // 000000003664: 807C30FF 00000500
	v_mfma_f32_16x16x32_fp8_fp8 v[92:95], a[84:85], a[12:13], v[92:95]// 00000000366C: D3F3005C 1D721954
	v_mfma_f32_16x16x32_fp8_fp8 v[92:95], a[86:87], a[14:15], v[92:95]// 000000003674: D3F3005C 1D721D56
	buffer_load_dword v49, s[20:23], 0 offen lds               // 00000000367C: E0511000 80050031
	s_add_u32 m0, 0x600, s48                                   // 000000003684: 807C30FF 00000600
	v_mfma_f32_16x16x32_fp8_fp8 v[96:99], a[80:81], a[16:17], v[96:99]// 00000000368C: D3F30060 1D822150
	v_mfma_f32_16x16x32_fp8_fp8 v[96:99], a[82:83], a[18:19], v[96:99]// 000000003694: D3F30060 1D822552
	buffer_load_dword v50, s[20:23], 0 offen lds               // 00000000369C: E0511000 80050032
	s_add_u32 m0, 0x700, s48                                   // 0000000036A4: 807C30FF 00000700
	v_mfma_f32_16x16x32_fp8_fp8 v[96:99], a[84:85], a[20:21], v[96:99]// 0000000036AC: D3F30060 1D822954
	v_mfma_f32_16x16x32_fp8_fp8 v[96:99], a[86:87], a[22:23], v[96:99]// 0000000036B4: D3F30060 1D822D56
	buffer_load_dword v51, s[20:23], 0 offen lds               // 0000000036BC: E0511000 80050033
	s_add_u32 m0, 0, s49                                       // 0000000036C4: 807C3180
	v_mfma_f32_16x16x32_fp8_fp8 v[100:103], a[80:81], a[24:25], v[100:103]// 0000000036C8: D3F30064 1D923150
	v_mfma_f32_16x16x32_fp8_fp8 v[100:103], a[82:83], a[26:27], v[100:103]// 0000000036D0: D3F30064 1D923552
	v_mfma_f32_16x16x32_fp8_fp8 v[100:103], a[84:85], a[28:29], v[100:103]// 0000000036D8: D3F30064 1D923954
	v_mfma_f32_16x16x32_fp8_fp8 v[100:103], a[86:87], a[30:31], v[100:103]// 0000000036E0: D3F30064 1D923D56
	s_waitcnt vmcnt(16)                                        // 0000000036E8: BF8C4F70
	v_mfma_f32_16x16x32_fp8_fp8 v[104:107], a[88:89], a[0:1], v[104:107]// 0000000036EC: D3F30068 1DA20158
	v_mfma_f32_16x16x32_fp8_fp8 v[104:107], a[90:91], a[2:3], v[104:107]// 0000000036F4: D3F30068 1DA2055A
	v_mfma_f32_16x16x32_fp8_fp8 v[104:107], a[92:93], a[4:5], v[104:107]// 0000000036FC: D3F30068 1DA2095C
	v_mfma_f32_16x16x32_fp8_fp8 v[104:107], a[94:95], a[6:7], v[104:107]// 000000003704: D3F30068 1DA20D5E
	v_mfma_f32_16x16x32_fp8_fp8 v[108:111], a[88:89], a[8:9], v[108:111]// 00000000370C: D3F3006C 1DB21158
	v_mfma_f32_16x16x32_fp8_fp8 v[108:111], a[90:91], a[10:11], v[108:111]// 000000003714: D3F3006C 1DB2155A
	v_mfma_f32_16x16x32_fp8_fp8 v[108:111], a[92:93], a[12:13], v[108:111]// 00000000371C: D3F3006C 1DB2195C
	v_mfma_f32_16x16x32_fp8_fp8 v[108:111], a[94:95], a[14:15], v[108:111]// 000000003724: D3F3006C 1DB21D5E
	v_mfma_f32_16x16x32_fp8_fp8 v[112:115], a[88:89], a[16:17], v[112:115]// 00000000372C: D3F30070 1DC22158
	v_mfma_f32_16x16x32_fp8_fp8 v[112:115], a[90:91], a[18:19], v[112:115]// 000000003734: D3F30070 1DC2255A
	v_mfma_f32_16x16x32_fp8_fp8 v[112:115], a[92:93], a[20:21], v[112:115]// 00000000373C: D3F30070 1DC2295C
	v_mfma_f32_16x16x32_fp8_fp8 v[112:115], a[94:95], a[22:23], v[112:115]// 000000003744: D3F30070 1DC22D5E
	v_mfma_f32_16x16x32_fp8_fp8 v[116:119], a[88:89], a[24:25], v[116:119]// 00000000374C: D3F30074 1DD23158
	v_mfma_f32_16x16x32_fp8_fp8 v[116:119], a[90:91], a[26:27], v[116:119]// 000000003754: D3F30074 1DD2355A
	s_add_u32 s60, 0x80, s80                                   // 00000000375C: 803C50FF 00000080
	s_cmp_lt_u32 s60, s81                                      // 000000003764: BF0A513C
	s_cselect_b32 s83, s83, 0                                  // 000000003768: 85538053
	v_mfma_f32_16x16x32_fp8_fp8 v[116:119], a[92:93], a[28:29], v[116:119]// 00000000376C: D3F30074 1DD2395C
	v_mfma_f32_16x16x32_fp8_fp8 v[116:119], a[94:95], a[30:31], v[116:119]// 000000003774: D3F30074 1DD23D5E
	s_waitcnt vmcnt(8)                                         // 00000000377C: BF8C0F78
	v_mfma_f32_16x16x32_fp8_fp8 v[120:123], a[96:97], a[0:1], v[120:123]// 000000003780: D3F30078 1DE20160
	v_mfma_f32_16x16x32_fp8_fp8 v[120:123], a[98:99], a[2:3], v[120:123]// 000000003788: D3F30078 1DE20562
	buffer_load_dwordx4 a[64:67], v52, s[24:27], 0 offen       // 000000003790: E05C1000 80864034
	v_mfma_f32_16x16x32_fp8_fp8 v[120:123], a[100:101], a[4:5], v[120:123]// 000000003798: D3F30078 1DE20964
	v_mfma_f32_16x16x32_fp8_fp8 v[120:123], a[102:103], a[6:7], v[120:123]// 0000000037A0: D3F30078 1DE20D66
	ds_read_b128 a[32:35], v2 offset:8320                      // 0000000037A8: DBFE2080 20000002
	ds_read_b128 a[36:39], v2 offset:8384                      // 0000000037B0: DBFE20C0 24000002
	v_mfma_f32_16x16x32_fp8_fp8 v[136:139], a[104:105], a[0:1], v[136:139]// 0000000037B8: D3F30088 1E220168
	v_mfma_f32_16x16x32_fp8_fp8 v[136:139], a[106:107], a[2:3], v[136:139]// 0000000037C0: D3F30088 1E22056A
	buffer_load_dwordx4 a[68:71], v52, s[24:27], 0 offen offset:1024// 0000000037C8: E05C1400 80864434
	v_mfma_f32_16x16x32_fp8_fp8 v[136:139], a[108:109], a[4:5], v[136:139]// 0000000037D0: D3F30088 1E22096C
	v_mfma_f32_16x16x32_fp8_fp8 v[136:139], a[110:111], a[6:7], v[136:139]// 0000000037D8: D3F30088 1E220D6E
	ds_read_b128 a[40:43], v2 offset:8832                      // 0000000037E0: DBFE2280 28000002
	ds_read_b128 a[44:47], v2 offset:8896                      // 0000000037E8: DBFE22C0 2C000002
	v_mfma_f32_16x16x32_fp8_fp8 v[152:155], a[112:113], a[0:1], v[152:155]// 0000000037F0: D3F30098 1E620170
	v_mfma_f32_16x16x32_fp8_fp8 v[152:155], a[114:115], a[2:3], v[152:155]// 0000000037F8: D3F30098 1E620572
	buffer_load_dwordx4 a[72:75], v53, s[24:27], 0 offen       // 000000003800: E05C1000 80864835
	v_mfma_f32_16x16x32_fp8_fp8 v[152:155], a[116:117], a[4:5], v[152:155]// 000000003808: D3F30098 1E620974
	v_mfma_f32_16x16x32_fp8_fp8 v[152:155], a[118:119], a[6:7], v[152:155]// 000000003810: D3F30098 1E620D76
	ds_read_b128 a[48:51], v2 offset:9344                      // 000000003818: DBFE2480 30000002
	ds_read_b128 a[52:55], v2 offset:9408                      // 000000003820: DBFE24C0 34000002
	v_mfma_f32_16x16x32_fp8_fp8 v[168:171], a[120:121], a[0:1], v[168:171]// 000000003828: D3F300A8 1EA20178
	v_mfma_f32_16x16x32_fp8_fp8 v[168:171], a[122:123], a[2:3], v[168:171]// 000000003830: D3F300A8 1EA2057A
	buffer_load_dwordx4 a[76:79], v53, s[24:27], 0 offen offset:1024// 000000003838: E05C1400 80864C35
	v_mfma_f32_16x16x32_fp8_fp8 v[168:171], a[124:125], a[4:5], v[168:171]// 000000003840: D3F300A8 1EA2097C
	v_mfma_f32_16x16x32_fp8_fp8 v[168:171], a[126:127], a[6:7], v[168:171]// 000000003848: D3F300A8 1EA20D7E
	ds_read_b128 a[56:59], v2 offset:9856                      // 000000003850: DBFE2680 38000002
	ds_read_b128 a[60:63], v2 offset:9920                      // 000000003858: DBFE26C0 3C000002
	v_mfma_f32_16x16x32_fp8_fp8 v[124:127], a[96:97], a[8:9], v[124:127]// 000000003860: D3F3007C 1DF21160
	v_mfma_f32_16x16x32_fp8_fp8 v[124:127], a[98:99], a[10:11], v[124:127]// 000000003868: D3F3007C 1DF21562
	buffer_load_dwordx4 a[80:83], v54, s[24:27], 0 offen       // 000000003870: E05C1000 80865036
	v_mfma_f32_16x16x32_fp8_fp8 v[124:127], a[100:101], a[12:13], v[124:127]// 000000003878: D3F3007C 1DF21964
	v_mfma_f32_16x16x32_fp8_fp8 v[124:127], a[102:103], a[14:15], v[124:127]// 000000003880: D3F3007C 1DF21D66
	v_mfma_f32_16x16x32_fp8_fp8 v[140:143], a[104:105], a[8:9], v[140:143]// 000000003888: D3F3008C 1E321168
	v_mfma_f32_16x16x32_fp8_fp8 v[140:143], a[106:107], a[10:11], v[140:143]// 000000003890: D3F3008C 1E32156A
	buffer_load_dwordx4 a[84:87], v54, s[24:27], 0 offen offset:1024// 000000003898: E05C1400 80865436
	v_mfma_f32_16x16x32_fp8_fp8 v[140:143], a[108:109], a[12:13], v[140:143]// 0000000038A0: D3F3008C 1E32196C
	v_mfma_f32_16x16x32_fp8_fp8 v[140:143], a[110:111], a[14:15], v[140:143]// 0000000038A8: D3F3008C 1E321D6E
	v_mfma_f32_16x16x32_fp8_fp8 v[156:159], a[112:113], a[8:9], v[156:159]// 0000000038B0: D3F3009C 1E721170
	v_mfma_f32_16x16x32_fp8_fp8 v[156:159], a[114:115], a[10:11], v[156:159]// 0000000038B8: D3F3009C 1E721572
	buffer_load_dwordx4 a[88:91], v55, s[24:27], 0 offen       // 0000000038C0: E05C1000 80865837
	v_mfma_f32_16x16x32_fp8_fp8 v[156:159], a[116:117], a[12:13], v[156:159]// 0000000038C8: D3F3009C 1E721974
	v_mfma_f32_16x16x32_fp8_fp8 v[156:159], a[118:119], a[14:15], v[156:159]// 0000000038D0: D3F3009C 1E721D76
	v_mfma_f32_16x16x32_fp8_fp8 v[172:175], a[120:121], a[8:9], v[172:175]// 0000000038D8: D3F300AC 1EB21178
	v_mfma_f32_16x16x32_fp8_fp8 v[172:175], a[122:123], a[10:11], v[172:175]// 0000000038E0: D3F300AC 1EB2157A
	buffer_load_dwordx4 a[92:95], v55, s[24:27], 0 offen offset:1024// 0000000038E8: E05C1400 80865C37
	v_mfma_f32_16x16x32_fp8_fp8 v[172:175], a[124:125], a[12:13], v[172:175]// 0000000038F0: D3F300AC 1EB2197C
	v_mfma_f32_16x16x32_fp8_fp8 v[172:175], a[126:127], a[14:15], v[172:175]// 0000000038F8: D3F300AC 1EB21D7E
	v_mfma_f32_16x16x32_fp8_fp8 v[128:131], a[96:97], a[16:17], v[128:131]// 000000003900: D3F30080 1E022160
	v_mfma_f32_16x16x32_fp8_fp8 v[128:131], a[98:99], a[18:19], v[128:131]// 000000003908: D3F30080 1E022562
	v_mfma_f32_16x16x32_fp8_fp8 v[128:131], a[100:101], a[20:21], v[128:131]// 000000003910: D3F30080 1E022964
	v_mfma_f32_16x16x32_fp8_fp8 v[128:131], a[102:103], a[22:23], v[128:131]// 000000003918: D3F30080 1E022D66
	v_mfma_f32_16x16x32_fp8_fp8 v[144:147], a[104:105], a[16:17], v[144:147]// 000000003920: D3F30090 1E422168
	v_mfma_f32_16x16x32_fp8_fp8 v[144:147], a[106:107], a[18:19], v[144:147]// 000000003928: D3F30090 1E42256A
	v_mfma_f32_16x16x32_fp8_fp8 v[144:147], a[108:109], a[20:21], v[144:147]// 000000003930: D3F30090 1E42296C
	v_mfma_f32_16x16x32_fp8_fp8 v[144:147], a[110:111], a[22:23], v[144:147]// 000000003938: D3F30090 1E422D6E
	v_mfma_f32_16x16x32_fp8_fp8 v[160:163], a[112:113], a[16:17], v[160:163]// 000000003940: D3F300A0 1E822170
	v_mfma_f32_16x16x32_fp8_fp8 v[160:163], a[114:115], a[18:19], v[160:163]// 000000003948: D3F300A0 1E822572
	v_mfma_f32_16x16x32_fp8_fp8 v[160:163], a[116:117], a[20:21], v[160:163]// 000000003950: D3F300A0 1E822974
	v_mfma_f32_16x16x32_fp8_fp8 v[160:163], a[118:119], a[22:23], v[160:163]// 000000003958: D3F300A0 1E822D76
	v_mfma_f32_16x16x32_fp8_fp8 v[176:179], a[120:121], a[16:17], v[176:179]// 000000003960: D3F300B0 1EC22178
	v_mfma_f32_16x16x32_fp8_fp8 v[176:179], a[122:123], a[18:19], v[176:179]// 000000003968: D3F300B0 1EC2257A
	v_mfma_f32_16x16x32_fp8_fp8 v[176:179], a[124:125], a[20:21], v[176:179]// 000000003970: D3F300B0 1EC2297C
	v_mfma_f32_16x16x32_fp8_fp8 v[176:179], a[126:127], a[22:23], v[176:179]// 000000003978: D3F300B0 1EC22D7E
	v_mfma_f32_16x16x32_fp8_fp8 v[132:135], a[96:97], a[24:25], v[132:135]// 000000003980: D3F30084 1E123160
	v_mfma_f32_16x16x32_fp8_fp8 v[132:135], a[98:99], a[26:27], v[132:135]// 000000003988: D3F30084 1E123562
	v_mfma_f32_16x16x32_fp8_fp8 v[132:135], a[100:101], a[28:29], v[132:135]// 000000003990: D3F30084 1E123964
	v_mfma_f32_16x16x32_fp8_fp8 v[132:135], a[102:103], a[30:31], v[132:135]// 000000003998: D3F30084 1E123D66
	v_mfma_f32_16x16x32_fp8_fp8 v[148:151], a[104:105], a[24:25], v[148:151]// 0000000039A0: D3F30094 1E523168
	v_mfma_f32_16x16x32_fp8_fp8 v[148:151], a[106:107], a[26:27], v[148:151]// 0000000039A8: D3F30094 1E52356A
	v_mfma_f32_16x16x32_fp8_fp8 v[148:151], a[108:109], a[28:29], v[148:151]// 0000000039B0: D3F30094 1E52396C
	v_mfma_f32_16x16x32_fp8_fp8 v[148:151], a[110:111], a[30:31], v[148:151]// 0000000039B8: D3F30094 1E523D6E
	v_mfma_f32_16x16x32_fp8_fp8 v[164:167], a[112:113], a[24:25], v[164:167]// 0000000039C0: D3F300A4 1E923170
	v_mfma_f32_16x16x32_fp8_fp8 v[164:167], a[114:115], a[26:27], v[164:167]// 0000000039C8: D3F300A4 1E923572
	v_mfma_f32_16x16x32_fp8_fp8 v[164:167], a[116:117], a[28:29], v[164:167]// 0000000039D0: D3F300A4 1E923974
	s_add_u32 s60, 0x180, s80                                  // 0000000039D8: 803C50FF 00000180
	s_cmp_lt_u32 s60, s81                                      // 0000000039E0: BF0A513C
	s_cselect_b32 s57, s57, 0                                  // 0000000039E4: 85398039
	v_mfma_f32_16x16x32_fp8_fp8 v[164:167], a[118:119], a[30:31], v[164:167]// 0000000039E8: D3F300A4 1E923D76
	s_add_u32 s60, 0x100, s80                                  // 0000000039F0: 803C50FF 00000100
	s_cmp_lt_u32 s60, s81                                      // 0000000039F8: BF0A513C
	s_cselect_b32 s58, s58, 0                                  // 0000000039FC: 853A803A
	v_mfma_f32_16x16x32_fp8_fp8 v[180:183], a[120:121], a[24:25], v[180:183]// 000000003A00: D3F300B4 1ED23178
	s_add_u32 s24, s58, s24                                    // 000000003A08: 8018183A
	s_addc_u32 s25, 0, s25                                     // 000000003A0C: 82191980
	v_mfma_f32_16x16x32_fp8_fp8 v[180:183], a[122:123], a[26:27], v[180:183]// 000000003A10: D3F300B4 1ED2357A
	s_add_u32 s20, s57, s20                                    // 000000003A18: 80141439
	s_addc_u32 s21, 0, s21                                     // 000000003A1C: 82151580
	v_mfma_f32_16x16x32_fp8_fp8 v[180:183], a[124:125], a[28:29], v[180:183]// 000000003A20: D3F300B4 1ED2397C
	s_add_u32 s84, s83, s84                                    // 000000003A28: 80545453
	s_addc_u32 s85, 0, s85                                     // 000000003A2C: 82555580
	v_mfma_f32_16x16x32_fp8_fp8 v[180:183], a[126:127], a[30:31], v[180:183]// 000000003A30: D3F300B4 1ED23D7E
	s_addk_i32 s80, 0x80                                       // 000000003A38: B7500080
	s_cmp_lt_i32 s80, s81                                      // 000000003A3C: BF045150
	s_cbranch_scc0 label_057C                                  // 000000003A40: BF84016B
	s_waitcnt vmcnt(6) lgkmcnt(0)                              // 000000003A44: BF8C0076
	s_barrier                                                  // 000000003A48: BF8A0000
	v_mfma_f32_16x16x32_fp8_fp8 v[56:59], a[64:65], a[32:33], v[56:59]// 000000003A4C: D3F30038 1CE24140
	v_mfma_f32_16x16x32_fp8_fp8 v[56:59], a[66:67], a[34:35], v[56:59]// 000000003A54: D3F30038 1CE24542
	buffer_load_dwordx4 a[96:99], v52, s[84:87], 0 offen       // 000000003A5C: E05C1000 80956034
	v_mfma_f32_16x16x32_fp8_fp8 v[56:59], a[68:69], a[36:37], v[56:59]// 000000003A64: D3F30038 1CE24944
	v_mfma_f32_16x16x32_fp8_fp8 v[56:59], a[70:71], a[38:39], v[56:59]// 000000003A6C: D3F30038 1CE24D46
	v_mfma_f32_16x16x32_fp8_fp8 v[60:63], a[64:65], a[40:41], v[60:63]// 000000003A74: D3F3003C 1CF25140
	v_mfma_f32_16x16x32_fp8_fp8 v[60:63], a[66:67], a[42:43], v[60:63]// 000000003A7C: D3F3003C 1CF25542
	buffer_load_dwordx4 a[100:103], v52, s[84:87], 0 offen offset:1024// 000000003A84: E05C1400 80956434
	v_mfma_f32_16x16x32_fp8_fp8 v[60:63], a[68:69], a[44:45], v[60:63]// 000000003A8C: D3F3003C 1CF25944
	v_mfma_f32_16x16x32_fp8_fp8 v[60:63], a[70:71], a[46:47], v[60:63]// 000000003A94: D3F3003C 1CF25D46
	v_mfma_f32_16x16x32_fp8_fp8 v[64:67], a[64:65], a[48:49], v[64:67]// 000000003A9C: D3F30040 1D026140
	v_mfma_f32_16x16x32_fp8_fp8 v[64:67], a[66:67], a[50:51], v[64:67]// 000000003AA4: D3F30040 1D026542
	buffer_load_dwordx4 a[104:107], v53, s[84:87], 0 offen     // 000000003AAC: E05C1000 80956835
	v_mfma_f32_16x16x32_fp8_fp8 v[64:67], a[68:69], a[52:53], v[64:67]// 000000003AB4: D3F30040 1D026944
	v_mfma_f32_16x16x32_fp8_fp8 v[64:67], a[70:71], a[54:55], v[64:67]// 000000003ABC: D3F30040 1D026D46
	v_mfma_f32_16x16x32_fp8_fp8 v[68:71], a[64:65], a[56:57], v[68:71]// 000000003AC4: D3F30044 1D127140
	v_mfma_f32_16x16x32_fp8_fp8 v[68:71], a[66:67], a[58:59], v[68:71]// 000000003ACC: D3F30044 1D127542
	buffer_load_dwordx4 a[108:111], v53, s[84:87], 0 offen offset:1024// 000000003AD4: E05C1400 80956C35
	v_mfma_f32_16x16x32_fp8_fp8 v[68:71], a[68:69], a[60:61], v[68:71]// 000000003ADC: D3F30044 1D127944
	v_mfma_f32_16x16x32_fp8_fp8 v[68:71], a[70:71], a[62:63], v[68:71]// 000000003AE4: D3F30044 1D127D46
	s_waitcnt vmcnt(8)                                         // 000000003AEC: BF8C0F78
	v_mfma_f32_16x16x32_fp8_fp8 v[72:75], a[72:73], a[32:33], v[72:75]// 000000003AF0: D3F30048 1D224148
	v_mfma_f32_16x16x32_fp8_fp8 v[72:75], a[74:75], a[34:35], v[72:75]// 000000003AF8: D3F30048 1D22454A
	buffer_load_dwordx4 a[112:115], v54, s[84:87], 0 offen     // 000000003B00: E05C1000 80957036
	v_mfma_f32_16x16x32_fp8_fp8 v[72:75], a[76:77], a[36:37], v[72:75]// 000000003B08: D3F30048 1D22494C
	v_mfma_f32_16x16x32_fp8_fp8 v[72:75], a[78:79], a[38:39], v[72:75]// 000000003B10: D3F30048 1D224D4E
	v_mfma_f32_16x16x32_fp8_fp8 v[76:79], a[72:73], a[40:41], v[76:79]// 000000003B18: D3F3004C 1D325148
	v_mfma_f32_16x16x32_fp8_fp8 v[76:79], a[74:75], a[42:43], v[76:79]// 000000003B20: D3F3004C 1D32554A
	buffer_load_dwordx4 a[116:119], v54, s[84:87], 0 offen offset:1024// 000000003B28: E05C1400 80957436
	v_mfma_f32_16x16x32_fp8_fp8 v[76:79], a[76:77], a[44:45], v[76:79]// 000000003B30: D3F3004C 1D32594C
	v_mfma_f32_16x16x32_fp8_fp8 v[76:79], a[78:79], a[46:47], v[76:79]// 000000003B38: D3F3004C 1D325D4E
	v_mfma_f32_16x16x32_fp8_fp8 v[80:83], a[72:73], a[48:49], v[80:83]// 000000003B40: D3F30050 1D426148
	v_mfma_f32_16x16x32_fp8_fp8 v[80:83], a[74:75], a[50:51], v[80:83]// 000000003B48: D3F30050 1D42654A
	buffer_load_dwordx4 a[120:123], v55, s[84:87], 0 offen     // 000000003B50: E05C1000 80957837
	v_mfma_f32_16x16x32_fp8_fp8 v[80:83], a[76:77], a[52:53], v[80:83]// 000000003B58: D3F30050 1D42694C
	v_mfma_f32_16x16x32_fp8_fp8 v[80:83], a[78:79], a[54:55], v[80:83]// 000000003B60: D3F30050 1D426D4E
	v_mfma_f32_16x16x32_fp8_fp8 v[84:87], a[72:73], a[56:57], v[84:87]// 000000003B68: D3F30054 1D527148
	v_mfma_f32_16x16x32_fp8_fp8 v[84:87], a[74:75], a[58:59], v[84:87]// 000000003B70: D3F30054 1D52754A
	buffer_load_dwordx4 a[124:127], v55, s[84:87], 0 offen offset:1024// 000000003B78: E05C1400 80957C37
	buffer_load_dword v44, s[20:23], 0 offen lds               // 000000003B80: E0511000 8005002C
	s_add_u32 m0, 0x100, s49                                   // 000000003B88: 807C31FF 00000100
	v_mfma_f32_16x16x32_fp8_fp8 v[84:87], a[76:77], a[60:61], v[84:87]// 000000003B90: D3F30054 1D52794C
	v_mfma_f32_16x16x32_fp8_fp8 v[84:87], a[78:79], a[62:63], v[84:87]// 000000003B98: D3F30054 1D527D4E
	buffer_load_dword v45, s[20:23], 0 offen lds               // 000000003BA0: E0511000 8005002D
	s_add_u32 m0, 0x200, s49                                   // 000000003BA8: 807C31FF 00000200
	s_waitcnt vmcnt(12)                                        // 000000003BB0: BF8C0F7C
	v_mfma_f32_16x16x32_fp8_fp8 v[88:91], a[80:81], a[32:33], v[88:91]// 000000003BB4: D3F30058 1D624150
	v_mfma_f32_16x16x32_fp8_fp8 v[88:91], a[82:83], a[34:35], v[88:91]// 000000003BBC: D3F30058 1D624552
	buffer_load_dword v46, s[20:23], 0 offen lds               // 000000003BC4: E0511000 8005002E
	s_add_u32 m0, 0x300, s49                                   // 000000003BCC: 807C31FF 00000300
	v_mfma_f32_16x16x32_fp8_fp8 v[88:91], a[84:85], a[36:37], v[88:91]// 000000003BD4: D3F30058 1D624954
	v_mfma_f32_16x16x32_fp8_fp8 v[88:91], a[86:87], a[38:39], v[88:91]// 000000003BDC: D3F30058 1D624D56
	buffer_load_dword v47, s[20:23], 0 offen lds               // 000000003BE4: E0511000 8005002F
	s_add_u32 m0, 0x400, s49                                   // 000000003BEC: 807C31FF 00000400
	v_mfma_f32_16x16x32_fp8_fp8 v[92:95], a[80:81], a[40:41], v[92:95]// 000000003BF4: D3F3005C 1D725150
	v_mfma_f32_16x16x32_fp8_fp8 v[92:95], a[82:83], a[42:43], v[92:95]// 000000003BFC: D3F3005C 1D725552
	buffer_load_dword v48, s[20:23], 0 offen lds               // 000000003C04: E0511000 80050030
	s_add_u32 m0, 0x500, s49                                   // 000000003C0C: 807C31FF 00000500
	v_mfma_f32_16x16x32_fp8_fp8 v[92:95], a[84:85], a[44:45], v[92:95]// 000000003C14: D3F3005C 1D725954
	v_mfma_f32_16x16x32_fp8_fp8 v[92:95], a[86:87], a[46:47], v[92:95]// 000000003C1C: D3F3005C 1D725D56
	buffer_load_dword v49, s[20:23], 0 offen lds               // 000000003C24: E0511000 80050031
	s_add_u32 m0, 0x600, s49                                   // 000000003C2C: 807C31FF 00000600
	v_mfma_f32_16x16x32_fp8_fp8 v[96:99], a[80:81], a[48:49], v[96:99]// 000000003C34: D3F30060 1D826150
	v_mfma_f32_16x16x32_fp8_fp8 v[96:99], a[82:83], a[50:51], v[96:99]// 000000003C3C: D3F30060 1D826552
	buffer_load_dword v50, s[20:23], 0 offen lds               // 000000003C44: E0511000 80050032
	s_add_u32 m0, 0x700, s49                                   // 000000003C4C: 807C31FF 00000700
	v_mfma_f32_16x16x32_fp8_fp8 v[96:99], a[84:85], a[52:53], v[96:99]// 000000003C54: D3F30060 1D826954
	v_mfma_f32_16x16x32_fp8_fp8 v[96:99], a[86:87], a[54:55], v[96:99]// 000000003C5C: D3F30060 1D826D56
	buffer_load_dword v51, s[20:23], 0 offen lds               // 000000003C64: E0511000 80050033
	s_add_u32 m0, 0, s48                                       // 000000003C6C: 807C3080
	v_mfma_f32_16x16x32_fp8_fp8 v[100:103], a[80:81], a[56:57], v[100:103]// 000000003C70: D3F30064 1D927150
	v_mfma_f32_16x16x32_fp8_fp8 v[100:103], a[82:83], a[58:59], v[100:103]// 000000003C78: D3F30064 1D927552
	v_mfma_f32_16x16x32_fp8_fp8 v[100:103], a[84:85], a[60:61], v[100:103]// 000000003C80: D3F30064 1D927954
	v_mfma_f32_16x16x32_fp8_fp8 v[100:103], a[86:87], a[62:63], v[100:103]// 000000003C88: D3F30064 1D927D56
	s_waitcnt vmcnt(16)                                        // 000000003C90: BF8C4F70
	v_mfma_f32_16x16x32_fp8_fp8 v[104:107], a[88:89], a[32:33], v[104:107]// 000000003C94: D3F30068 1DA24158
	v_mfma_f32_16x16x32_fp8_fp8 v[104:107], a[90:91], a[34:35], v[104:107]// 000000003C9C: D3F30068 1DA2455A
	v_mfma_f32_16x16x32_fp8_fp8 v[104:107], a[92:93], a[36:37], v[104:107]// 000000003CA4: D3F30068 1DA2495C
	v_mfma_f32_16x16x32_fp8_fp8 v[104:107], a[94:95], a[38:39], v[104:107]// 000000003CAC: D3F30068 1DA24D5E
	v_mfma_f32_16x16x32_fp8_fp8 v[108:111], a[88:89], a[40:41], v[108:111]// 000000003CB4: D3F3006C 1DB25158
	v_mfma_f32_16x16x32_fp8_fp8 v[108:111], a[90:91], a[42:43], v[108:111]// 000000003CBC: D3F3006C 1DB2555A
	v_mfma_f32_16x16x32_fp8_fp8 v[108:111], a[92:93], a[44:45], v[108:111]// 000000003CC4: D3F3006C 1DB2595C
	v_mfma_f32_16x16x32_fp8_fp8 v[108:111], a[94:95], a[46:47], v[108:111]// 000000003CCC: D3F3006C 1DB25D5E
	v_mfma_f32_16x16x32_fp8_fp8 v[112:115], a[88:89], a[48:49], v[112:115]// 000000003CD4: D3F30070 1DC26158
	v_mfma_f32_16x16x32_fp8_fp8 v[112:115], a[90:91], a[50:51], v[112:115]// 000000003CDC: D3F30070 1DC2655A
	v_mfma_f32_16x16x32_fp8_fp8 v[112:115], a[92:93], a[52:53], v[112:115]// 000000003CE4: D3F30070 1DC2695C
	v_mfma_f32_16x16x32_fp8_fp8 v[112:115], a[94:95], a[54:55], v[112:115]// 000000003CEC: D3F30070 1DC26D5E
	v_mfma_f32_16x16x32_fp8_fp8 v[116:119], a[88:89], a[56:57], v[116:119]// 000000003CF4: D3F30074 1DD27158
	v_mfma_f32_16x16x32_fp8_fp8 v[116:119], a[90:91], a[58:59], v[116:119]// 000000003CFC: D3F30074 1DD2755A
	s_add_u32 s60, 0x80, s80                                   // 000000003D04: 803C50FF 00000080
	s_cmp_lt_u32 s60, s81                                      // 000000003D0C: BF0A513C
	s_cselect_b32 s83, s83, 0                                  // 000000003D10: 85538053
	v_mfma_f32_16x16x32_fp8_fp8 v[116:119], a[92:93], a[60:61], v[116:119]// 000000003D14: D3F30074 1DD2795C
	v_mfma_f32_16x16x32_fp8_fp8 v[116:119], a[94:95], a[62:63], v[116:119]// 000000003D1C: D3F30074 1DD27D5E
	s_waitcnt vmcnt(8)                                         // 000000003D24: BF8C0F78
	v_mfma_f32_16x16x32_fp8_fp8 v[120:123], a[96:97], a[32:33], v[120:123]// 000000003D28: D3F30078 1DE24160
	v_mfma_f32_16x16x32_fp8_fp8 v[120:123], a[98:99], a[34:35], v[120:123]// 000000003D30: D3F30078 1DE24562
	buffer_load_dwordx4 a[64:67], v52, s[24:27], 0 offen       // 000000003D38: E05C1000 80864034
	v_mfma_f32_16x16x32_fp8_fp8 v[120:123], a[100:101], a[36:37], v[120:123]// 000000003D40: D3F30078 1DE24964
	v_mfma_f32_16x16x32_fp8_fp8 v[120:123], a[102:103], a[38:39], v[120:123]// 000000003D48: D3F30078 1DE24D66
	ds_read_b128 a[0:3], v2                                    // 000000003D50: DBFE0000 00000002
	ds_read_b128 a[4:7], v2 offset:64                          // 000000003D58: DBFE0040 04000002
	v_mfma_f32_16x16x32_fp8_fp8 v[136:139], a[104:105], a[32:33], v[136:139]// 000000003D60: D3F30088 1E224168
	v_mfma_f32_16x16x32_fp8_fp8 v[136:139], a[106:107], a[34:35], v[136:139]// 000000003D68: D3F30088 1E22456A
	buffer_load_dwordx4 a[68:71], v52, s[24:27], 0 offen offset:1024// 000000003D70: E05C1400 80864434
	v_mfma_f32_16x16x32_fp8_fp8 v[136:139], a[108:109], a[36:37], v[136:139]// 000000003D78: D3F30088 1E22496C
	v_mfma_f32_16x16x32_fp8_fp8 v[136:139], a[110:111], a[38:39], v[136:139]// 000000003D80: D3F30088 1E224D6E
	ds_read_b128 a[8:11], v2 offset:512                        // 000000003D88: DBFE0200 08000002
	ds_read_b128 a[12:15], v2 offset:576                       // 000000003D90: DBFE0240 0C000002
	v_mfma_f32_16x16x32_fp8_fp8 v[152:155], a[112:113], a[32:33], v[152:155]// 000000003D98: D3F30098 1E624170
	v_mfma_f32_16x16x32_fp8_fp8 v[152:155], a[114:115], a[34:35], v[152:155]// 000000003DA0: D3F30098 1E624572
	buffer_load_dwordx4 a[72:75], v53, s[24:27], 0 offen       // 000000003DA8: E05C1000 80864835
	v_mfma_f32_16x16x32_fp8_fp8 v[152:155], a[116:117], a[36:37], v[152:155]// 000000003DB0: D3F30098 1E624974
	v_mfma_f32_16x16x32_fp8_fp8 v[152:155], a[118:119], a[38:39], v[152:155]// 000000003DB8: D3F30098 1E624D76
	ds_read_b128 a[16:19], v2 offset:1024                      // 000000003DC0: DBFE0400 10000002
	ds_read_b128 a[20:23], v2 offset:1088                      // 000000003DC8: DBFE0440 14000002
	v_mfma_f32_16x16x32_fp8_fp8 v[168:171], a[120:121], a[32:33], v[168:171]// 000000003DD0: D3F300A8 1EA24178
	v_mfma_f32_16x16x32_fp8_fp8 v[168:171], a[122:123], a[34:35], v[168:171]// 000000003DD8: D3F300A8 1EA2457A
	buffer_load_dwordx4 a[76:79], v53, s[24:27], 0 offen offset:1024// 000000003DE0: E05C1400 80864C35
	v_mfma_f32_16x16x32_fp8_fp8 v[168:171], a[124:125], a[36:37], v[168:171]// 000000003DE8: D3F300A8 1EA2497C
	v_mfma_f32_16x16x32_fp8_fp8 v[168:171], a[126:127], a[38:39], v[168:171]// 000000003DF0: D3F300A8 1EA24D7E
	ds_read_b128 a[24:27], v2 offset:1536                      // 000000003DF8: DBFE0600 18000002
	ds_read_b128 a[28:31], v2 offset:1600                      // 000000003E00: DBFE0640 1C000002
	v_mfma_f32_16x16x32_fp8_fp8 v[124:127], a[96:97], a[40:41], v[124:127]// 000000003E08: D3F3007C 1DF25160
	v_mfma_f32_16x16x32_fp8_fp8 v[124:127], a[98:99], a[42:43], v[124:127]// 000000003E10: D3F3007C 1DF25562
	buffer_load_dwordx4 a[80:83], v54, s[24:27], 0 offen       // 000000003E18: E05C1000 80865036
	v_mfma_f32_16x16x32_fp8_fp8 v[124:127], a[100:101], a[44:45], v[124:127]// 000000003E20: D3F3007C 1DF25964
	v_mfma_f32_16x16x32_fp8_fp8 v[124:127], a[102:103], a[46:47], v[124:127]// 000000003E28: D3F3007C 1DF25D66
	v_mfma_f32_16x16x32_fp8_fp8 v[140:143], a[104:105], a[40:41], v[140:143]// 000000003E30: D3F3008C 1E325168
	v_mfma_f32_16x16x32_fp8_fp8 v[140:143], a[106:107], a[42:43], v[140:143]// 000000003E38: D3F3008C 1E32556A
	buffer_load_dwordx4 a[84:87], v54, s[24:27], 0 offen offset:1024// 000000003E40: E05C1400 80865436
	v_mfma_f32_16x16x32_fp8_fp8 v[140:143], a[108:109], a[44:45], v[140:143]// 000000003E48: D3F3008C 1E32596C
	v_mfma_f32_16x16x32_fp8_fp8 v[140:143], a[110:111], a[46:47], v[140:143]// 000000003E50: D3F3008C 1E325D6E
	v_mfma_f32_16x16x32_fp8_fp8 v[156:159], a[112:113], a[40:41], v[156:159]// 000000003E58: D3F3009C 1E725170
	v_mfma_f32_16x16x32_fp8_fp8 v[156:159], a[114:115], a[42:43], v[156:159]// 000000003E60: D3F3009C 1E725572
	buffer_load_dwordx4 a[88:91], v55, s[24:27], 0 offen       // 000000003E68: E05C1000 80865837
	v_mfma_f32_16x16x32_fp8_fp8 v[156:159], a[116:117], a[44:45], v[156:159]// 000000003E70: D3F3009C 1E725974
	v_mfma_f32_16x16x32_fp8_fp8 v[156:159], a[118:119], a[46:47], v[156:159]// 000000003E78: D3F3009C 1E725D76
	v_mfma_f32_16x16x32_fp8_fp8 v[172:175], a[120:121], a[40:41], v[172:175]// 000000003E80: D3F300AC 1EB25178
	v_mfma_f32_16x16x32_fp8_fp8 v[172:175], a[122:123], a[42:43], v[172:175]// 000000003E88: D3F300AC 1EB2557A
	buffer_load_dwordx4 a[92:95], v55, s[24:27], 0 offen offset:1024// 000000003E90: E05C1400 80865C37
	v_mfma_f32_16x16x32_fp8_fp8 v[172:175], a[124:125], a[44:45], v[172:175]// 000000003E98: D3F300AC 1EB2597C
	v_mfma_f32_16x16x32_fp8_fp8 v[172:175], a[126:127], a[46:47], v[172:175]// 000000003EA0: D3F300AC 1EB25D7E
	v_mfma_f32_16x16x32_fp8_fp8 v[128:131], a[96:97], a[48:49], v[128:131]// 000000003EA8: D3F30080 1E026160
	v_mfma_f32_16x16x32_fp8_fp8 v[128:131], a[98:99], a[50:51], v[128:131]// 000000003EB0: D3F30080 1E026562
	v_mfma_f32_16x16x32_fp8_fp8 v[128:131], a[100:101], a[52:53], v[128:131]// 000000003EB8: D3F30080 1E026964
	v_mfma_f32_16x16x32_fp8_fp8 v[128:131], a[102:103], a[54:55], v[128:131]// 000000003EC0: D3F30080 1E026D66
	v_mfma_f32_16x16x32_fp8_fp8 v[144:147], a[104:105], a[48:49], v[144:147]// 000000003EC8: D3F30090 1E426168
	v_mfma_f32_16x16x32_fp8_fp8 v[144:147], a[106:107], a[50:51], v[144:147]// 000000003ED0: D3F30090 1E42656A
	v_mfma_f32_16x16x32_fp8_fp8 v[144:147], a[108:109], a[52:53], v[144:147]// 000000003ED8: D3F30090 1E42696C
	v_mfma_f32_16x16x32_fp8_fp8 v[144:147], a[110:111], a[54:55], v[144:147]// 000000003EE0: D3F30090 1E426D6E
	v_mfma_f32_16x16x32_fp8_fp8 v[160:163], a[112:113], a[48:49], v[160:163]// 000000003EE8: D3F300A0 1E826170
	v_mfma_f32_16x16x32_fp8_fp8 v[160:163], a[114:115], a[50:51], v[160:163]// 000000003EF0: D3F300A0 1E826572
	v_mfma_f32_16x16x32_fp8_fp8 v[160:163], a[116:117], a[52:53], v[160:163]// 000000003EF8: D3F300A0 1E826974
	v_mfma_f32_16x16x32_fp8_fp8 v[160:163], a[118:119], a[54:55], v[160:163]// 000000003F00: D3F300A0 1E826D76
	v_mfma_f32_16x16x32_fp8_fp8 v[176:179], a[120:121], a[48:49], v[176:179]// 000000003F08: D3F300B0 1EC26178
	v_mfma_f32_16x16x32_fp8_fp8 v[176:179], a[122:123], a[50:51], v[176:179]// 000000003F10: D3F300B0 1EC2657A
	v_mfma_f32_16x16x32_fp8_fp8 v[176:179], a[124:125], a[52:53], v[176:179]// 000000003F18: D3F300B0 1EC2697C
	v_mfma_f32_16x16x32_fp8_fp8 v[176:179], a[126:127], a[54:55], v[176:179]// 000000003F20: D3F300B0 1EC26D7E
	v_mfma_f32_16x16x32_fp8_fp8 v[132:135], a[96:97], a[56:57], v[132:135]// 000000003F28: D3F30084 1E127160
	v_mfma_f32_16x16x32_fp8_fp8 v[132:135], a[98:99], a[58:59], v[132:135]// 000000003F30: D3F30084 1E127562
	v_mfma_f32_16x16x32_fp8_fp8 v[132:135], a[100:101], a[60:61], v[132:135]// 000000003F38: D3F30084 1E127964
	v_mfma_f32_16x16x32_fp8_fp8 v[132:135], a[102:103], a[62:63], v[132:135]// 000000003F40: D3F30084 1E127D66
	v_mfma_f32_16x16x32_fp8_fp8 v[148:151], a[104:105], a[56:57], v[148:151]// 000000003F48: D3F30094 1E527168
	v_mfma_f32_16x16x32_fp8_fp8 v[148:151], a[106:107], a[58:59], v[148:151]// 000000003F50: D3F30094 1E52756A
	v_mfma_f32_16x16x32_fp8_fp8 v[148:151], a[108:109], a[60:61], v[148:151]// 000000003F58: D3F30094 1E52796C
	v_mfma_f32_16x16x32_fp8_fp8 v[148:151], a[110:111], a[62:63], v[148:151]// 000000003F60: D3F30094 1E527D6E
	v_mfma_f32_16x16x32_fp8_fp8 v[164:167], a[112:113], a[56:57], v[164:167]// 000000003F68: D3F300A4 1E927170
	v_mfma_f32_16x16x32_fp8_fp8 v[164:167], a[114:115], a[58:59], v[164:167]// 000000003F70: D3F300A4 1E927572
	v_mfma_f32_16x16x32_fp8_fp8 v[164:167], a[116:117], a[60:61], v[164:167]// 000000003F78: D3F300A4 1E927974
	s_add_u32 s60, 0x180, s80                                  // 000000003F80: 803C50FF 00000180
	s_cmp_lt_u32 s60, s81                                      // 000000003F88: BF0A513C
	s_cselect_b32 s57, s57, 0                                  // 000000003F8C: 85398039
	v_mfma_f32_16x16x32_fp8_fp8 v[164:167], a[118:119], a[62:63], v[164:167]// 000000003F90: D3F300A4 1E927D76
	s_add_u32 s60, 0x100, s80                                  // 000000003F98: 803C50FF 00000100
	s_cmp_lt_u32 s60, s81                                      // 000000003FA0: BF0A513C
	s_cselect_b32 s58, s58, 0                                  // 000000003FA4: 853A803A
	v_mfma_f32_16x16x32_fp8_fp8 v[180:183], a[120:121], a[56:57], v[180:183]// 000000003FA8: D3F300B4 1ED27178
	s_add_u32 s24, s58, s24                                    // 000000003FB0: 8018183A
	s_addc_u32 s25, 0, s25                                     // 000000003FB4: 82191980
	v_mfma_f32_16x16x32_fp8_fp8 v[180:183], a[122:123], a[58:59], v[180:183]// 000000003FB8: D3F300B4 1ED2757A
	s_add_u32 s20, s57, s20                                    // 000000003FC0: 80141439
	s_addc_u32 s21, 0, s21                                     // 000000003FC4: 82151580
	v_mfma_f32_16x16x32_fp8_fp8 v[180:183], a[124:125], a[60:61], v[180:183]// 000000003FC8: D3F300B4 1ED2797C
	s_add_u32 s84, s83, s84                                    // 000000003FD0: 80545453
	s_addc_u32 s85, 0, s85                                     // 000000003FD4: 82555580
	v_mfma_f32_16x16x32_fp8_fp8 v[180:183], a[126:127], a[62:63], v[180:183]// 000000003FD8: D3F300B4 1ED27D7E
	s_addk_i32 s80, 0x80                                       // 000000003FE0: B7500080
	s_cmp_lt_i32 s80, s81                                      // 000000003FE4: BF045150
	s_cbranch_scc0 label_057C                                  // 000000003FE8: BF840001
	s_branch label_02A7                                        // 000000003FEC: BF82FD2B

0000000000003ff0 <label_057C>:
	v_mul_f32_dpp v56, v24, v56 row_newbcast:0 row_mask:0xf bank_mask:0xf// 000000003FF0: 0A7070FA FF015018
	v_mul_f32_dpp v57, v24, v57 row_newbcast:1 row_mask:0xf bank_mask:0xf// 000000003FF8: 0A7272FA FF015118
	v_mul_f32_dpp v58, v24, v58 row_newbcast:2 row_mask:0xf bank_mask:0xf// 000000004000: 0A7474FA FF015218
	v_mul_f32_dpp v59, v24, v59 row_newbcast:3 row_mask:0xf bank_mask:0xf// 000000004008: 0A7676FA FF015318
	v_mul_f32_dpp v60, v24, v60 row_newbcast:0 row_mask:0xf bank_mask:0xf// 000000004010: 0A7878FA FF015018
	v_mul_f32_dpp v61, v24, v61 row_newbcast:1 row_mask:0xf bank_mask:0xf// 000000004018: 0A7A7AFA FF015118
	v_mul_f32_dpp v62, v24, v62 row_newbcast:2 row_mask:0xf bank_mask:0xf// 000000004020: 0A7C7CFA FF015218
	v_mul_f32_dpp v63, v24, v63 row_newbcast:3 row_mask:0xf bank_mask:0xf// 000000004028: 0A7E7EFA FF015318
	v_mul_f32_dpp v64, v24, v64 row_newbcast:0 row_mask:0xf bank_mask:0xf// 000000004030: 0A8080FA FF015018
	v_mul_f32_dpp v65, v24, v65 row_newbcast:1 row_mask:0xf bank_mask:0xf// 000000004038: 0A8282FA FF015118
	v_mul_f32_dpp v66, v24, v66 row_newbcast:2 row_mask:0xf bank_mask:0xf// 000000004040: 0A8484FA FF015218
	v_mul_f32_dpp v67, v24, v67 row_newbcast:3 row_mask:0xf bank_mask:0xf// 000000004048: 0A8686FA FF015318
	v_mul_f32_dpp v68, v24, v68 row_newbcast:0 row_mask:0xf bank_mask:0xf// 000000004050: 0A8888FA FF015018
	v_mul_f32_dpp v69, v24, v69 row_newbcast:1 row_mask:0xf bank_mask:0xf// 000000004058: 0A8A8AFA FF015118
	v_mul_f32_dpp v70, v24, v70 row_newbcast:2 row_mask:0xf bank_mask:0xf// 000000004060: 0A8C8CFA FF015218
	v_mul_f32_dpp v71, v24, v71 row_newbcast:3 row_mask:0xf bank_mask:0xf// 000000004068: 0A8E8EFA FF015318
	v_mul_f32_dpp v72, v24, v72 row_newbcast:4 row_mask:0xf bank_mask:0xf// 000000004070: 0A9090FA FF015418
	v_mul_f32_dpp v73, v24, v73 row_newbcast:5 row_mask:0xf bank_mask:0xf// 000000004078: 0A9292FA FF015518
	v_mul_f32_dpp v74, v24, v74 row_newbcast:6 row_mask:0xf bank_mask:0xf// 000000004080: 0A9494FA FF015618
	v_mul_f32_dpp v75, v24, v75 row_newbcast:7 row_mask:0xf bank_mask:0xf// 000000004088: 0A9696FA FF015718
	v_mul_f32_dpp v76, v24, v76 row_newbcast:4 row_mask:0xf bank_mask:0xf// 000000004090: 0A9898FA FF015418
	v_mul_f32_dpp v77, v24, v77 row_newbcast:5 row_mask:0xf bank_mask:0xf// 000000004098: 0A9A9AFA FF015518
	v_mul_f32_dpp v78, v24, v78 row_newbcast:6 row_mask:0xf bank_mask:0xf// 0000000040A0: 0A9C9CFA FF015618
	v_mul_f32_dpp v79, v24, v79 row_newbcast:7 row_mask:0xf bank_mask:0xf// 0000000040A8: 0A9E9EFA FF015718
	v_mul_f32_dpp v80, v24, v80 row_newbcast:4 row_mask:0xf bank_mask:0xf// 0000000040B0: 0AA0A0FA FF015418
	v_mul_f32_dpp v81, v24, v81 row_newbcast:5 row_mask:0xf bank_mask:0xf// 0000000040B8: 0AA2A2FA FF015518
	v_mul_f32_dpp v82, v24, v82 row_newbcast:6 row_mask:0xf bank_mask:0xf// 0000000040C0: 0AA4A4FA FF015618
	v_mul_f32_dpp v83, v24, v83 row_newbcast:7 row_mask:0xf bank_mask:0xf// 0000000040C8: 0AA6A6FA FF015718
	v_mul_f32_dpp v84, v24, v84 row_newbcast:4 row_mask:0xf bank_mask:0xf// 0000000040D0: 0AA8A8FA FF015418
	v_mul_f32_dpp v85, v24, v85 row_newbcast:5 row_mask:0xf bank_mask:0xf// 0000000040D8: 0AAAAAFA FF015518
	v_mul_f32_dpp v86, v24, v86 row_newbcast:6 row_mask:0xf bank_mask:0xf// 0000000040E0: 0AACACFA FF015618
	v_mul_f32_dpp v87, v24, v87 row_newbcast:7 row_mask:0xf bank_mask:0xf// 0000000040E8: 0AAEAEFA FF015718
	v_mul_f32_dpp v88, v24, v88 row_newbcast:8 row_mask:0xf bank_mask:0xf// 0000000040F0: 0AB0B0FA FF015818
	v_mul_f32_dpp v89, v24, v89 row_newbcast:9 row_mask:0xf bank_mask:0xf// 0000000040F8: 0AB2B2FA FF015918
	v_mul_f32_dpp v90, v24, v90 row_newbcast:10 row_mask:0xf bank_mask:0xf// 000000004100: 0AB4B4FA FF015A18
	v_mul_f32_dpp v91, v24, v91 row_newbcast:11 row_mask:0xf bank_mask:0xf// 000000004108: 0AB6B6FA FF015B18
	v_mul_f32_dpp v92, v24, v92 row_newbcast:8 row_mask:0xf bank_mask:0xf// 000000004110: 0AB8B8FA FF015818
	v_mul_f32_dpp v93, v24, v93 row_newbcast:9 row_mask:0xf bank_mask:0xf// 000000004118: 0ABABAFA FF015918
	v_mul_f32_dpp v94, v24, v94 row_newbcast:10 row_mask:0xf bank_mask:0xf// 000000004120: 0ABCBCFA FF015A18
	v_mul_f32_dpp v95, v24, v95 row_newbcast:11 row_mask:0xf bank_mask:0xf// 000000004128: 0ABEBEFA FF015B18
	v_mul_f32_dpp v96, v24, v96 row_newbcast:8 row_mask:0xf bank_mask:0xf// 000000004130: 0AC0C0FA FF015818
	v_mul_f32_dpp v97, v24, v97 row_newbcast:9 row_mask:0xf bank_mask:0xf// 000000004138: 0AC2C2FA FF015918
	v_mul_f32_dpp v98, v24, v98 row_newbcast:10 row_mask:0xf bank_mask:0xf// 000000004140: 0AC4C4FA FF015A18
	v_mul_f32_dpp v99, v24, v99 row_newbcast:11 row_mask:0xf bank_mask:0xf// 000000004148: 0AC6C6FA FF015B18
	v_mul_f32_dpp v100, v24, v100 row_newbcast:8 row_mask:0xf bank_mask:0xf// 000000004150: 0AC8C8FA FF015818
	v_mul_f32_dpp v101, v24, v101 row_newbcast:9 row_mask:0xf bank_mask:0xf// 000000004158: 0ACACAFA FF015918
	v_mul_f32_dpp v102, v24, v102 row_newbcast:10 row_mask:0xf bank_mask:0xf// 000000004160: 0ACCCCFA FF015A18
	v_mul_f32_dpp v103, v24, v103 row_newbcast:11 row_mask:0xf bank_mask:0xf// 000000004168: 0ACECEFA FF015B18
	v_mul_f32_dpp v104, v24, v104 row_newbcast:12 row_mask:0xf bank_mask:0xf// 000000004170: 0AD0D0FA FF015C18
	v_mul_f32_dpp v105, v24, v105 row_newbcast:13 row_mask:0xf bank_mask:0xf// 000000004178: 0AD2D2FA FF015D18
	v_mul_f32_dpp v106, v24, v106 row_newbcast:14 row_mask:0xf bank_mask:0xf// 000000004180: 0AD4D4FA FF015E18
	v_mul_f32_dpp v107, v24, v107 row_newbcast:15 row_mask:0xf bank_mask:0xf// 000000004188: 0AD6D6FA FF015F18
	v_mul_f32_dpp v108, v24, v108 row_newbcast:12 row_mask:0xf bank_mask:0xf// 000000004190: 0AD8D8FA FF015C18
	v_mul_f32_dpp v109, v24, v109 row_newbcast:13 row_mask:0xf bank_mask:0xf// 000000004198: 0ADADAFA FF015D18
	v_mul_f32_dpp v110, v24, v110 row_newbcast:14 row_mask:0xf bank_mask:0xf// 0000000041A0: 0ADCDCFA FF015E18
	v_mul_f32_dpp v111, v24, v111 row_newbcast:15 row_mask:0xf bank_mask:0xf// 0000000041A8: 0ADEDEFA FF015F18
	v_mul_f32_dpp v112, v24, v112 row_newbcast:12 row_mask:0xf bank_mask:0xf// 0000000041B0: 0AE0E0FA FF015C18
	v_mul_f32_dpp v113, v24, v113 row_newbcast:13 row_mask:0xf bank_mask:0xf// 0000000041B8: 0AE2E2FA FF015D18
	v_mul_f32_dpp v114, v24, v114 row_newbcast:14 row_mask:0xf bank_mask:0xf// 0000000041C0: 0AE4E4FA FF015E18
	v_mul_f32_dpp v115, v24, v115 row_newbcast:15 row_mask:0xf bank_mask:0xf// 0000000041C8: 0AE6E6FA FF015F18
	v_mul_f32_dpp v116, v24, v116 row_newbcast:12 row_mask:0xf bank_mask:0xf// 0000000041D0: 0AE8E8FA FF015C18
	v_mul_f32_dpp v117, v24, v117 row_newbcast:13 row_mask:0xf bank_mask:0xf// 0000000041D8: 0AEAEAFA FF015D18
	v_mul_f32_dpp v118, v24, v118 row_newbcast:14 row_mask:0xf bank_mask:0xf// 0000000041E0: 0AECECFA FF015E18
	v_mul_f32_dpp v119, v24, v119 row_newbcast:15 row_mask:0xf bank_mask:0xf// 0000000041E8: 0AEEEEFA FF015F18
	v_mul_f32_dpp v120, v26, v120 row_newbcast:0 row_mask:0xf bank_mask:0xf// 0000000041F0: 0AF0F0FA FF01501A
	v_mul_f32_dpp v121, v26, v121 row_newbcast:1 row_mask:0xf bank_mask:0xf// 0000000041F8: 0AF2F2FA FF01511A
	v_mul_f32_dpp v122, v26, v122 row_newbcast:2 row_mask:0xf bank_mask:0xf// 000000004200: 0AF4F4FA FF01521A
	v_mul_f32_dpp v123, v26, v123 row_newbcast:3 row_mask:0xf bank_mask:0xf// 000000004208: 0AF6F6FA FF01531A
	v_mul_f32_dpp v124, v26, v124 row_newbcast:0 row_mask:0xf bank_mask:0xf// 000000004210: 0AF8F8FA FF01501A
	v_mul_f32_dpp v125, v26, v125 row_newbcast:1 row_mask:0xf bank_mask:0xf// 000000004218: 0AFAFAFA FF01511A
	v_mul_f32_dpp v126, v26, v126 row_newbcast:2 row_mask:0xf bank_mask:0xf// 000000004220: 0AFCFCFA FF01521A
	v_mul_f32_dpp v127, v26, v127 row_newbcast:3 row_mask:0xf bank_mask:0xf// 000000004228: 0AFEFEFA FF01531A
	v_mul_f32_dpp v128, v26, v128 row_newbcast:0 row_mask:0xf bank_mask:0xf// 000000004230: 0B0100FA FF01501A
	v_mul_f32_dpp v129, v26, v129 row_newbcast:1 row_mask:0xf bank_mask:0xf// 000000004238: 0B0302FA FF01511A
	v_mul_f32_dpp v130, v26, v130 row_newbcast:2 row_mask:0xf bank_mask:0xf// 000000004240: 0B0504FA FF01521A
	v_mul_f32_dpp v131, v26, v131 row_newbcast:3 row_mask:0xf bank_mask:0xf// 000000004248: 0B0706FA FF01531A
	v_mul_f32_dpp v132, v26, v132 row_newbcast:0 row_mask:0xf bank_mask:0xf// 000000004250: 0B0908FA FF01501A
	v_mul_f32_dpp v133, v26, v133 row_newbcast:1 row_mask:0xf bank_mask:0xf// 000000004258: 0B0B0AFA FF01511A
	v_mul_f32_dpp v134, v26, v134 row_newbcast:2 row_mask:0xf bank_mask:0xf// 000000004260: 0B0D0CFA FF01521A
	v_mul_f32_dpp v135, v26, v135 row_newbcast:3 row_mask:0xf bank_mask:0xf// 000000004268: 0B0F0EFA FF01531A
	v_mul_f32_dpp v136, v26, v136 row_newbcast:4 row_mask:0xf bank_mask:0xf// 000000004270: 0B1110FA FF01541A
	v_mul_f32_dpp v137, v26, v137 row_newbcast:5 row_mask:0xf bank_mask:0xf// 000000004278: 0B1312FA FF01551A
	v_mul_f32_dpp v138, v26, v138 row_newbcast:6 row_mask:0xf bank_mask:0xf// 000000004280: 0B1514FA FF01561A
	v_mul_f32_dpp v139, v26, v139 row_newbcast:7 row_mask:0xf bank_mask:0xf// 000000004288: 0B1716FA FF01571A
	v_mul_f32_dpp v140, v26, v140 row_newbcast:4 row_mask:0xf bank_mask:0xf// 000000004290: 0B1918FA FF01541A
	v_mul_f32_dpp v141, v26, v141 row_newbcast:5 row_mask:0xf bank_mask:0xf// 000000004298: 0B1B1AFA FF01551A
	v_mul_f32_dpp v142, v26, v142 row_newbcast:6 row_mask:0xf bank_mask:0xf// 0000000042A0: 0B1D1CFA FF01561A
	v_mul_f32_dpp v143, v26, v143 row_newbcast:7 row_mask:0xf bank_mask:0xf// 0000000042A8: 0B1F1EFA FF01571A
	v_mul_f32_dpp v144, v26, v144 row_newbcast:4 row_mask:0xf bank_mask:0xf// 0000000042B0: 0B2120FA FF01541A
	v_mul_f32_dpp v145, v26, v145 row_newbcast:5 row_mask:0xf bank_mask:0xf// 0000000042B8: 0B2322FA FF01551A
	v_mul_f32_dpp v146, v26, v146 row_newbcast:6 row_mask:0xf bank_mask:0xf// 0000000042C0: 0B2524FA FF01561A
	v_mul_f32_dpp v147, v26, v147 row_newbcast:7 row_mask:0xf bank_mask:0xf// 0000000042C8: 0B2726FA FF01571A
	v_mul_f32_dpp v148, v26, v148 row_newbcast:4 row_mask:0xf bank_mask:0xf// 0000000042D0: 0B2928FA FF01541A
	v_mul_f32_dpp v149, v26, v149 row_newbcast:5 row_mask:0xf bank_mask:0xf// 0000000042D8: 0B2B2AFA FF01551A
	v_mul_f32_dpp v150, v26, v150 row_newbcast:6 row_mask:0xf bank_mask:0xf// 0000000042E0: 0B2D2CFA FF01561A
	v_mul_f32_dpp v151, v26, v151 row_newbcast:7 row_mask:0xf bank_mask:0xf// 0000000042E8: 0B2F2EFA FF01571A
	v_mul_f32_dpp v152, v26, v152 row_newbcast:8 row_mask:0xf bank_mask:0xf// 0000000042F0: 0B3130FA FF01581A
	v_mul_f32_dpp v153, v26, v153 row_newbcast:9 row_mask:0xf bank_mask:0xf// 0000000042F8: 0B3332FA FF01591A
	v_mul_f32_dpp v154, v26, v154 row_newbcast:10 row_mask:0xf bank_mask:0xf// 000000004300: 0B3534FA FF015A1A
	v_mul_f32_dpp v155, v26, v155 row_newbcast:11 row_mask:0xf bank_mask:0xf// 000000004308: 0B3736FA FF015B1A
	v_mul_f32_dpp v156, v26, v156 row_newbcast:8 row_mask:0xf bank_mask:0xf// 000000004310: 0B3938FA FF01581A
	v_mul_f32_dpp v157, v26, v157 row_newbcast:9 row_mask:0xf bank_mask:0xf// 000000004318: 0B3B3AFA FF01591A
	v_mul_f32_dpp v158, v26, v158 row_newbcast:10 row_mask:0xf bank_mask:0xf// 000000004320: 0B3D3CFA FF015A1A
	v_mul_f32_dpp v159, v26, v159 row_newbcast:11 row_mask:0xf bank_mask:0xf// 000000004328: 0B3F3EFA FF015B1A
	v_mul_f32_dpp v160, v26, v160 row_newbcast:8 row_mask:0xf bank_mask:0xf// 000000004330: 0B4140FA FF01581A
	v_mul_f32_dpp v161, v26, v161 row_newbcast:9 row_mask:0xf bank_mask:0xf// 000000004338: 0B4342FA FF01591A
	v_mul_f32_dpp v162, v26, v162 row_newbcast:10 row_mask:0xf bank_mask:0xf// 000000004340: 0B4544FA FF015A1A
	v_mul_f32_dpp v163, v26, v163 row_newbcast:11 row_mask:0xf bank_mask:0xf// 000000004348: 0B4746FA FF015B1A
	v_mul_f32_dpp v164, v26, v164 row_newbcast:8 row_mask:0xf bank_mask:0xf// 000000004350: 0B4948FA FF01581A
	v_mul_f32_dpp v165, v26, v165 row_newbcast:9 row_mask:0xf bank_mask:0xf// 000000004358: 0B4B4AFA FF01591A
	v_mul_f32_dpp v166, v26, v166 row_newbcast:10 row_mask:0xf bank_mask:0xf// 000000004360: 0B4D4CFA FF015A1A
	v_mul_f32_dpp v167, v26, v167 row_newbcast:11 row_mask:0xf bank_mask:0xf// 000000004368: 0B4F4EFA FF015B1A
	v_mul_f32_dpp v168, v26, v168 row_newbcast:12 row_mask:0xf bank_mask:0xf// 000000004370: 0B5150FA FF015C1A
	v_mul_f32_dpp v169, v26, v169 row_newbcast:13 row_mask:0xf bank_mask:0xf// 000000004378: 0B5352FA FF015D1A
	v_mul_f32_dpp v170, v26, v170 row_newbcast:14 row_mask:0xf bank_mask:0xf// 000000004380: 0B5554FA FF015E1A
	v_mul_f32_dpp v171, v26, v171 row_newbcast:15 row_mask:0xf bank_mask:0xf// 000000004388: 0B5756FA FF015F1A
	v_mul_f32_dpp v172, v26, v172 row_newbcast:12 row_mask:0xf bank_mask:0xf// 000000004390: 0B5958FA FF015C1A
	v_mul_f32_dpp v173, v26, v173 row_newbcast:13 row_mask:0xf bank_mask:0xf// 000000004398: 0B5B5AFA FF015D1A
	v_mul_f32_dpp v174, v26, v174 row_newbcast:14 row_mask:0xf bank_mask:0xf// 0000000043A0: 0B5D5CFA FF015E1A
	v_mul_f32_dpp v175, v26, v175 row_newbcast:15 row_mask:0xf bank_mask:0xf// 0000000043A8: 0B5F5EFA FF015F1A
	v_mul_f32_dpp v176, v26, v176 row_newbcast:12 row_mask:0xf bank_mask:0xf// 0000000043B0: 0B6160FA FF015C1A
	v_mul_f32_dpp v177, v26, v177 row_newbcast:13 row_mask:0xf bank_mask:0xf// 0000000043B8: 0B6362FA FF015D1A
	v_mul_f32_dpp v178, v26, v178 row_newbcast:14 row_mask:0xf bank_mask:0xf// 0000000043C0: 0B6564FA FF015E1A
	v_mul_f32_dpp v179, v26, v179 row_newbcast:15 row_mask:0xf bank_mask:0xf// 0000000043C8: 0B6766FA FF015F1A
	v_mul_f32_dpp v180, v26, v180 row_newbcast:12 row_mask:0xf bank_mask:0xf// 0000000043D0: 0B6968FA FF015C1A
	v_mul_f32_dpp v181, v26, v181 row_newbcast:13 row_mask:0xf bank_mask:0xf// 0000000043D8: 0B6B6AFA FF015D1A
	v_mul_f32_dpp v182, v26, v182 row_newbcast:14 row_mask:0xf bank_mask:0xf// 0000000043E0: 0B6D6CFA FF015E1A
	v_mul_f32_dpp v183, v26, v183 row_newbcast:15 row_mask:0xf bank_mask:0xf// 0000000043E8: 0B6F6EFA FF015F1A
	v_mov_b32_e32 v4, v32                                      // 0000000043F0: 7E080320
	v_mov_b32_e32 v5, v4                                       // 0000000043F4: 7E0A0304
	v_pk_mul_f32 v[56:57], v[4:5], v[56:57]                    // 0000000043F8: D3B14038 18027104
	v_pk_mul_f32 v[120:121], v[4:5], v[120:121]                // 000000004400: D3B14078 1802F104
	v_pk_mul_f32 v[58:59], v[4:5], v[58:59]                    // 000000004408: D3B1403A 18027504
	v_pk_mul_f32 v[122:123], v[4:5], v[122:123]                // 000000004410: D3B1407A 1802F504
	v_pk_mul_f32 v[72:73], v[4:5], v[72:73]                    // 000000004418: D3B14048 18029104
	v_pk_mul_f32 v[136:137], v[4:5], v[136:137]                // 000000004420: D3B14088 18031104
	v_pk_mul_f32 v[74:75], v[4:5], v[74:75]                    // 000000004428: D3B1404A 18029504
	v_pk_mul_f32 v[138:139], v[4:5], v[138:139]                // 000000004430: D3B1408A 18031504
	v_pk_mul_f32 v[88:89], v[4:5], v[88:89]                    // 000000004438: D3B14058 1802B104
	v_pk_mul_f32 v[152:153], v[4:5], v[152:153]                // 000000004440: D3B14098 18033104
	v_pk_mul_f32 v[90:91], v[4:5], v[90:91]                    // 000000004448: D3B1405A 1802B504
	v_pk_mul_f32 v[154:155], v[4:5], v[154:155]                // 000000004450: D3B1409A 18033504
	v_pk_mul_f32 v[104:105], v[4:5], v[104:105]                // 000000004458: D3B14068 1802D104
	v_pk_mul_f32 v[168:169], v[4:5], v[168:169]                // 000000004460: D3B140A8 18035104
	v_pk_mul_f32 v[106:107], v[4:5], v[106:107]                // 000000004468: D3B1406A 1802D504
	v_pk_mul_f32 v[170:171], v[4:5], v[170:171]                // 000000004470: D3B140AA 18035504
	v_mov_b32_e32 v4, v33                                      // 000000004478: 7E080321
	v_mov_b32_e32 v5, v4                                       // 00000000447C: 7E0A0304
	v_pk_mul_f32 v[60:61], v[4:5], v[60:61]                    // 000000004480: D3B1403C 18027904
	v_pk_mul_f32 v[124:125], v[4:5], v[124:125]                // 000000004488: D3B1407C 1802F904
	v_pk_mul_f32 v[62:63], v[4:5], v[62:63]                    // 000000004490: D3B1403E 18027D04
	v_pk_mul_f32 v[126:127], v[4:5], v[126:127]                // 000000004498: D3B1407E 1802FD04
	v_pk_mul_f32 v[76:77], v[4:5], v[76:77]                    // 0000000044A0: D3B1404C 18029904
	v_pk_mul_f32 v[140:141], v[4:5], v[140:141]                // 0000000044A8: D3B1408C 18031904
	v_pk_mul_f32 v[78:79], v[4:5], v[78:79]                    // 0000000044B0: D3B1404E 18029D04
	v_pk_mul_f32 v[142:143], v[4:5], v[142:143]                // 0000000044B8: D3B1408E 18031D04
	v_pk_mul_f32 v[92:93], v[4:5], v[92:93]                    // 0000000044C0: D3B1405C 1802B904
	v_pk_mul_f32 v[156:157], v[4:5], v[156:157]                // 0000000044C8: D3B1409C 18033904
	v_pk_mul_f32 v[94:95], v[4:5], v[94:95]                    // 0000000044D0: D3B1405E 1802BD04
	v_pk_mul_f32 v[158:159], v[4:5], v[158:159]                // 0000000044D8: D3B1409E 18033D04
	v_pk_mul_f32 v[108:109], v[4:5], v[108:109]                // 0000000044E0: D3B1406C 1802D904
	v_pk_mul_f32 v[172:173], v[4:5], v[172:173]                // 0000000044E8: D3B140AC 18035904
	v_pk_mul_f32 v[110:111], v[4:5], v[110:111]                // 0000000044F0: D3B1406E 1802DD04
	v_pk_mul_f32 v[174:175], v[4:5], v[174:175]                // 0000000044F8: D3B140AE 18035D04
	v_mov_b32_e32 v4, v34                                      // 000000004500: 7E080322
	v_mov_b32_e32 v5, v4                                       // 000000004504: 7E0A0304
	v_pk_mul_f32 v[64:65], v[4:5], v[64:65]                    // 000000004508: D3B14040 18028104
	v_pk_mul_f32 v[128:129], v[4:5], v[128:129]                // 000000004510: D3B14080 18030104
	v_pk_mul_f32 v[66:67], v[4:5], v[66:67]                    // 000000004518: D3B14042 18028504
	v_pk_mul_f32 v[130:131], v[4:5], v[130:131]                // 000000004520: D3B14082 18030504
	v_pk_mul_f32 v[80:81], v[4:5], v[80:81]                    // 000000004528: D3B14050 1802A104
	v_pk_mul_f32 v[144:145], v[4:5], v[144:145]                // 000000004530: D3B14090 18032104
	v_pk_mul_f32 v[82:83], v[4:5], v[82:83]                    // 000000004538: D3B14052 1802A504
	v_pk_mul_f32 v[146:147], v[4:5], v[146:147]                // 000000004540: D3B14092 18032504
	v_pk_mul_f32 v[96:97], v[4:5], v[96:97]                    // 000000004548: D3B14060 1802C104
	v_pk_mul_f32 v[160:161], v[4:5], v[160:161]                // 000000004550: D3B140A0 18034104
	v_pk_mul_f32 v[98:99], v[4:5], v[98:99]                    // 000000004558: D3B14062 1802C504
	v_pk_mul_f32 v[162:163], v[4:5], v[162:163]                // 000000004560: D3B140A2 18034504
	v_pk_mul_f32 v[112:113], v[4:5], v[112:113]                // 000000004568: D3B14070 1802E104
	v_pk_mul_f32 v[176:177], v[4:5], v[176:177]                // 000000004570: D3B140B0 18036104
	v_pk_mul_f32 v[114:115], v[4:5], v[114:115]                // 000000004578: D3B14072 1802E504
	v_pk_mul_f32 v[178:179], v[4:5], v[178:179]                // 000000004580: D3B140B2 18036504
	v_mov_b32_e32 v4, v35                                      // 000000004588: 7E080323
	v_mov_b32_e32 v5, v4                                       // 00000000458C: 7E0A0304
	v_pk_mul_f32 v[68:69], v[4:5], v[68:69]                    // 000000004590: D3B14044 18028904
	v_pk_mul_f32 v[132:133], v[4:5], v[132:133]                // 000000004598: D3B14084 18030904
	v_pk_mul_f32 v[70:71], v[4:5], v[70:71]                    // 0000000045A0: D3B14046 18028D04
	v_pk_mul_f32 v[134:135], v[4:5], v[134:135]                // 0000000045A8: D3B14086 18030D04
	v_pk_mul_f32 v[84:85], v[4:5], v[84:85]                    // 0000000045B0: D3B14054 1802A904
	v_pk_mul_f32 v[148:149], v[4:5], v[148:149]                // 0000000045B8: D3B14094 18032904
	v_pk_mul_f32 v[86:87], v[4:5], v[86:87]                    // 0000000045C0: D3B14056 1802AD04
	v_pk_mul_f32 v[150:151], v[4:5], v[150:151]                // 0000000045C8: D3B14096 18032D04
	v_pk_mul_f32 v[100:101], v[4:5], v[100:101]                // 0000000045D0: D3B14064 1802C904
	v_pk_mul_f32 v[164:165], v[4:5], v[164:165]                // 0000000045D8: D3B140A4 18034904
	v_pk_mul_f32 v[102:103], v[4:5], v[102:103]                // 0000000045E0: D3B14066 1802CD04
	v_pk_mul_f32 v[166:167], v[4:5], v[166:167]                // 0000000045E8: D3B140A6 18034D04
	v_pk_mul_f32 v[116:117], v[4:5], v[116:117]                // 0000000045F0: D3B14074 1802E904
	v_pk_mul_f32 v[180:181], v[4:5], v[180:181]                // 0000000045F8: D3B140B4 18036904
	v_pk_mul_f32 v[118:119], v[4:5], v[118:119]                // 000000004600: D3B14076 1802ED04
	v_pk_mul_f32 v[182:183], v[4:5], v[182:183]                // 000000004608: D3B140B6 18036D04
	s_cmp_eq_u32 s88, 0                                        // 000000004610: BF068058
	s_cbranch_scc0 label_0F37                                  // 000000004614: BF840831
	s_cmp_eq_u32 s89, 0                                        // 000000004618: BF068059
	s_cbranch_scc1 label_098D                                  // 00000000461C: BF850285
	v_mov_b32_e32 v8, v1                                       // 000000004620: 7E100301
	v_mov_b32_e32 v9, v1                                       // 000000004624: 7E120301
	s_mov_b32 s60, s6                                          // 000000004628: BEBC0006
	s_mov_b32 s61, s6                                          // 00000000462C: BEBD0006
	v_pk_mul_f32 v[4:5], v[56:57], v[56:57]                    // 000000004630: D3B14004 18027138
	v_pk_mul_f32 v[6:7], v[58:59], v[58:59]                    // 000000004638: D3B14006 1802753A
	v_pk_fma_f32 v[4:5], v[4:5], s[78:79], v[8:9]              // 000000004640: D3B04004 1C209D04
	v_pk_fma_f32 v[6:7], v[6:7], s[78:79], v[8:9]              // 000000004648: D3B04006 1C209D06
	v_pk_mul_f32 v[4:5], v[4:5], v[56:57]                      // 000000004650: D3B14004 18027104
	v_pk_mul_f32 v[6:7], v[6:7], v[58:59]                      // 000000004658: D3B14006 18027506
	v_pk_mul_f32 v[4:5], v[4:5], s[60:61]                      // 000000004660: D3B14004 18007904
	v_pk_mul_f32 v[6:7], v[6:7], s[60:61]                      // 000000004668: D3B14006 18007906
	v_exp_f32_e32 v4, v4                                       // 000000004670: 7E084104
	v_exp_f32_e32 v5, v5                                       // 000000004674: 7E0A4105
	v_exp_f32_e32 v6, v6                                       // 000000004678: 7E0C4106
	v_exp_f32_e32 v7, v7                                       // 00000000467C: 7E0E4107
	v_add_f32_e64 v4, v4, 1.0                                  // 000000004680: D1010004 0001E504
	v_add_f32_e64 v5, v5, 1.0                                  // 000000004688: D1010005 0001E505
	v_add_f32_e64 v6, v6, 1.0                                  // 000000004690: D1010006 0001E506
	v_add_f32_e64 v7, v7, 1.0                                  // 000000004698: D1010007 0001E507
	v_rcp_f32_e32 v4, v4                                       // 0000000046A0: 7E084504
	v_rcp_f32_e32 v5, v5                                       // 0000000046A4: 7E0A4505
	v_rcp_f32_e32 v6, v6                                       // 0000000046A8: 7E0C4506
	v_rcp_f32_e32 v7, v7                                       // 0000000046AC: 7E0E4507
	v_mul_f32_e32 v56, v56, v4                                 // 0000000046B0: 0A700938
	v_mul_f32_e32 v57, v57, v5                                 // 0000000046B4: 0A720B39
	v_mul_f32_e32 v58, v58, v6                                 // 0000000046B8: 0A740D3A
	v_mul_f32_e32 v59, v59, v7                                 // 0000000046BC: 0A760F3B
	v_mul_f32_e32 v56, v56, v120                               // 0000000046C0: 0A70F138
	v_mul_f32_e32 v57, v57, v121                               // 0000000046C4: 0A72F339
	v_mul_f32_e32 v58, v58, v122                               // 0000000046C8: 0A74F53A
	v_mul_f32_e32 v59, v59, v123                               // 0000000046CC: 0A76F73B
	v_pk_mul_f32 v[4:5], v[60:61], v[60:61]                    // 0000000046D0: D3B14004 1802793C
	v_pk_mul_f32 v[6:7], v[62:63], v[62:63]                    // 0000000046D8: D3B14006 18027D3E
	v_pk_fma_f32 v[4:5], v[4:5], s[78:79], v[8:9]              // 0000000046E0: D3B04004 1C209D04
	v_pk_fma_f32 v[6:7], v[6:7], s[78:79], v[8:9]              // 0000000046E8: D3B04006 1C209D06
	v_pk_mul_f32 v[4:5], v[4:5], v[60:61]                      // 0000000046F0: D3B14004 18027904
	v_pk_mul_f32 v[6:7], v[6:7], v[62:63]                      // 0000000046F8: D3B14006 18027D06
	v_pk_mul_f32 v[4:5], v[4:5], s[60:61]                      // 000000004700: D3B14004 18007904
	v_pk_mul_f32 v[6:7], v[6:7], s[60:61]                      // 000000004708: D3B14006 18007906
	v_exp_f32_e32 v4, v4                                       // 000000004710: 7E084104
	v_exp_f32_e32 v5, v5                                       // 000000004714: 7E0A4105
	v_exp_f32_e32 v6, v6                                       // 000000004718: 7E0C4106
	v_exp_f32_e32 v7, v7                                       // 00000000471C: 7E0E4107
	v_add_f32_e64 v4, v4, 1.0                                  // 000000004720: D1010004 0001E504
	v_add_f32_e64 v5, v5, 1.0                                  // 000000004728: D1010005 0001E505
	v_add_f32_e64 v6, v6, 1.0                                  // 000000004730: D1010006 0001E506
	v_add_f32_e64 v7, v7, 1.0                                  // 000000004738: D1010007 0001E507
	v_rcp_f32_e32 v4, v4                                       // 000000004740: 7E084504
	v_rcp_f32_e32 v5, v5                                       // 000000004744: 7E0A4505
	v_rcp_f32_e32 v6, v6                                       // 000000004748: 7E0C4506
	v_rcp_f32_e32 v7, v7                                       // 00000000474C: 7E0E4507
	v_mul_f32_e32 v60, v60, v4                                 // 000000004750: 0A78093C
	v_mul_f32_e32 v61, v61, v5                                 // 000000004754: 0A7A0B3D
	v_mul_f32_e32 v62, v62, v6                                 // 000000004758: 0A7C0D3E
	v_mul_f32_e32 v63, v63, v7                                 // 00000000475C: 0A7E0F3F
	v_mul_f32_e32 v60, v60, v124                               // 000000004760: 0A78F93C
	v_mul_f32_e32 v61, v61, v125                               // 000000004764: 0A7AFB3D
	v_mul_f32_e32 v62, v62, v126                               // 000000004768: 0A7CFD3E
	v_mul_f32_e32 v63, v63, v127                               // 00000000476C: 0A7EFF3F
	v_pk_mul_f32 v[4:5], v[64:65], v[64:65]                    // 000000004770: D3B14004 18028140
	v_pk_mul_f32 v[6:7], v[66:67], v[66:67]                    // 000000004778: D3B14006 18028542
	v_pk_fma_f32 v[4:5], v[4:5], s[78:79], v[8:9]              // 000000004780: D3B04004 1C209D04
	v_pk_fma_f32 v[6:7], v[6:7], s[78:79], v[8:9]              // 000000004788: D3B04006 1C209D06
	v_pk_mul_f32 v[4:5], v[4:5], v[64:65]                      // 000000004790: D3B14004 18028104
	v_pk_mul_f32 v[6:7], v[6:7], v[66:67]                      // 000000004798: D3B14006 18028506
	v_pk_mul_f32 v[4:5], v[4:5], s[60:61]                      // 0000000047A0: D3B14004 18007904
	v_pk_mul_f32 v[6:7], v[6:7], s[60:61]                      // 0000000047A8: D3B14006 18007906
	v_exp_f32_e32 v4, v4                                       // 0000000047B0: 7E084104
	v_exp_f32_e32 v5, v5                                       // 0000000047B4: 7E0A4105
	v_exp_f32_e32 v6, v6                                       // 0000000047B8: 7E0C4106
	v_exp_f32_e32 v7, v7                                       // 0000000047BC: 7E0E4107
	v_add_f32_e64 v4, v4, 1.0                                  // 0000000047C0: D1010004 0001E504
	v_add_f32_e64 v5, v5, 1.0                                  // 0000000047C8: D1010005 0001E505
	v_add_f32_e64 v6, v6, 1.0                                  // 0000000047D0: D1010006 0001E506
	v_add_f32_e64 v7, v7, 1.0                                  // 0000000047D8: D1010007 0001E507
	v_rcp_f32_e32 v4, v4                                       // 0000000047E0: 7E084504
	v_rcp_f32_e32 v5, v5                                       // 0000000047E4: 7E0A4505
	v_rcp_f32_e32 v6, v6                                       // 0000000047E8: 7E0C4506
	v_rcp_f32_e32 v7, v7                                       // 0000000047EC: 7E0E4507
	v_mul_f32_e32 v64, v64, v4                                 // 0000000047F0: 0A800940
	v_mul_f32_e32 v65, v65, v5                                 // 0000000047F4: 0A820B41
	v_mul_f32_e32 v66, v66, v6                                 // 0000000047F8: 0A840D42
	v_mul_f32_e32 v67, v67, v7                                 // 0000000047FC: 0A860F43
	v_mul_f32_e32 v64, v64, v128                               // 000000004800: 0A810140
	v_mul_f32_e32 v65, v65, v129                               // 000000004804: 0A830341
	v_mul_f32_e32 v66, v66, v130                               // 000000004808: 0A850542
	v_mul_f32_e32 v67, v67, v131                               // 00000000480C: 0A870743
	v_pk_mul_f32 v[4:5], v[68:69], v[68:69]                    // 000000004810: D3B14004 18028944
	v_pk_mul_f32 v[6:7], v[70:71], v[70:71]                    // 000000004818: D3B14006 18028D46
	v_pk_fma_f32 v[4:5], v[4:5], s[78:79], v[8:9]              // 000000004820: D3B04004 1C209D04
	v_pk_fma_f32 v[6:7], v[6:7], s[78:79], v[8:9]              // 000000004828: D3B04006 1C209D06
	v_pk_mul_f32 v[4:5], v[4:5], v[68:69]                      // 000000004830: D3B14004 18028904
	v_pk_mul_f32 v[6:7], v[6:7], v[70:71]                      // 000000004838: D3B14006 18028D06
	v_pk_mul_f32 v[4:5], v[4:5], s[60:61]                      // 000000004840: D3B14004 18007904
	v_pk_mul_f32 v[6:7], v[6:7], s[60:61]                      // 000000004848: D3B14006 18007906
	v_exp_f32_e32 v4, v4                                       // 000000004850: 7E084104
	v_exp_f32_e32 v5, v5                                       // 000000004854: 7E0A4105
	v_exp_f32_e32 v6, v6                                       // 000000004858: 7E0C4106
	v_exp_f32_e32 v7, v7                                       // 00000000485C: 7E0E4107
	v_add_f32_e64 v4, v4, 1.0                                  // 000000004860: D1010004 0001E504
	v_add_f32_e64 v5, v5, 1.0                                  // 000000004868: D1010005 0001E505
	v_add_f32_e64 v6, v6, 1.0                                  // 000000004870: D1010006 0001E506
	v_add_f32_e64 v7, v7, 1.0                                  // 000000004878: D1010007 0001E507
	v_rcp_f32_e32 v4, v4                                       // 000000004880: 7E084504
	v_rcp_f32_e32 v5, v5                                       // 000000004884: 7E0A4505
	v_rcp_f32_e32 v6, v6                                       // 000000004888: 7E0C4506
	v_rcp_f32_e32 v7, v7                                       // 00000000488C: 7E0E4507
	v_mul_f32_e32 v68, v68, v4                                 // 000000004890: 0A880944
	v_mul_f32_e32 v69, v69, v5                                 // 000000004894: 0A8A0B45
	v_mul_f32_e32 v70, v70, v6                                 // 000000004898: 0A8C0D46
	v_mul_f32_e32 v71, v71, v7                                 // 00000000489C: 0A8E0F47
	v_mul_f32_e32 v68, v68, v132                               // 0000000048A0: 0A890944
	v_mul_f32_e32 v69, v69, v133                               // 0000000048A4: 0A8B0B45
	v_mul_f32_e32 v70, v70, v134                               // 0000000048A8: 0A8D0D46
	v_mul_f32_e32 v71, v71, v135                               // 0000000048AC: 0A8F0F47
	v_pk_mul_f32 v[4:5], v[72:73], v[72:73]                    // 0000000048B0: D3B14004 18029148
	v_pk_mul_f32 v[6:7], v[74:75], v[74:75]                    // 0000000048B8: D3B14006 1802954A
	v_pk_fma_f32 v[4:5], v[4:5], s[78:79], v[8:9]              // 0000000048C0: D3B04004 1C209D04
	v_pk_fma_f32 v[6:7], v[6:7], s[78:79], v[8:9]              // 0000000048C8: D3B04006 1C209D06
	v_pk_mul_f32 v[4:5], v[4:5], v[72:73]                      // 0000000048D0: D3B14004 18029104
	v_pk_mul_f32 v[6:7], v[6:7], v[74:75]                      // 0000000048D8: D3B14006 18029506
	v_pk_mul_f32 v[4:5], v[4:5], s[60:61]                      // 0000000048E0: D3B14004 18007904
	v_pk_mul_f32 v[6:7], v[6:7], s[60:61]                      // 0000000048E8: D3B14006 18007906
	v_exp_f32_e32 v4, v4                                       // 0000000048F0: 7E084104
	v_exp_f32_e32 v5, v5                                       // 0000000048F4: 7E0A4105
	v_exp_f32_e32 v6, v6                                       // 0000000048F8: 7E0C4106
	v_exp_f32_e32 v7, v7                                       // 0000000048FC: 7E0E4107
	v_add_f32_e64 v4, v4, 1.0                                  // 000000004900: D1010004 0001E504
	v_add_f32_e64 v5, v5, 1.0                                  // 000000004908: D1010005 0001E505
	v_add_f32_e64 v6, v6, 1.0                                  // 000000004910: D1010006 0001E506
	v_add_f32_e64 v7, v7, 1.0                                  // 000000004918: D1010007 0001E507
	v_rcp_f32_e32 v4, v4                                       // 000000004920: 7E084504
	v_rcp_f32_e32 v5, v5                                       // 000000004924: 7E0A4505
	v_rcp_f32_e32 v6, v6                                       // 000000004928: 7E0C4506
	v_rcp_f32_e32 v7, v7                                       // 00000000492C: 7E0E4507
	v_mul_f32_e32 v72, v72, v4                                 // 000000004930: 0A900948
	v_mul_f32_e32 v73, v73, v5                                 // 000000004934: 0A920B49
	v_mul_f32_e32 v74, v74, v6                                 // 000000004938: 0A940D4A
	v_mul_f32_e32 v75, v75, v7                                 // 00000000493C: 0A960F4B
	v_mul_f32_e32 v72, v72, v136                               // 000000004940: 0A911148
	v_mul_f32_e32 v73, v73, v137                               // 000000004944: 0A931349
	v_mul_f32_e32 v74, v74, v138                               // 000000004948: 0A95154A
	v_mul_f32_e32 v75, v75, v139                               // 00000000494C: 0A97174B
	v_pk_mul_f32 v[4:5], v[76:77], v[76:77]                    // 000000004950: D3B14004 1802994C
	v_pk_mul_f32 v[6:7], v[78:79], v[78:79]                    // 000000004958: D3B14006 18029D4E
	v_pk_fma_f32 v[4:5], v[4:5], s[78:79], v[8:9]              // 000000004960: D3B04004 1C209D04
	v_pk_fma_f32 v[6:7], v[6:7], s[78:79], v[8:9]              // 000000004968: D3B04006 1C209D06
	v_pk_mul_f32 v[4:5], v[4:5], v[76:77]                      // 000000004970: D3B14004 18029904
	v_pk_mul_f32 v[6:7], v[6:7], v[78:79]                      // 000000004978: D3B14006 18029D06
	v_pk_mul_f32 v[4:5], v[4:5], s[60:61]                      // 000000004980: D3B14004 18007904
	v_pk_mul_f32 v[6:7], v[6:7], s[60:61]                      // 000000004988: D3B14006 18007906
	v_exp_f32_e32 v4, v4                                       // 000000004990: 7E084104
	v_exp_f32_e32 v5, v5                                       // 000000004994: 7E0A4105
	v_exp_f32_e32 v6, v6                                       // 000000004998: 7E0C4106
	v_exp_f32_e32 v7, v7                                       // 00000000499C: 7E0E4107
	v_add_f32_e64 v4, v4, 1.0                                  // 0000000049A0: D1010004 0001E504
	v_add_f32_e64 v5, v5, 1.0                                  // 0000000049A8: D1010005 0001E505
	v_add_f32_e64 v6, v6, 1.0                                  // 0000000049B0: D1010006 0001E506
	v_add_f32_e64 v7, v7, 1.0                                  // 0000000049B8: D1010007 0001E507
	v_rcp_f32_e32 v4, v4                                       // 0000000049C0: 7E084504
	v_rcp_f32_e32 v5, v5                                       // 0000000049C4: 7E0A4505
	v_rcp_f32_e32 v6, v6                                       // 0000000049C8: 7E0C4506
	v_rcp_f32_e32 v7, v7                                       // 0000000049CC: 7E0E4507
	v_mul_f32_e32 v76, v76, v4                                 // 0000000049D0: 0A98094C
	v_mul_f32_e32 v77, v77, v5                                 // 0000000049D4: 0A9A0B4D
	v_mul_f32_e32 v78, v78, v6                                 // 0000000049D8: 0A9C0D4E
	v_mul_f32_e32 v79, v79, v7                                 // 0000000049DC: 0A9E0F4F
	v_mul_f32_e32 v76, v76, v140                               // 0000000049E0: 0A99194C
	v_mul_f32_e32 v77, v77, v141                               // 0000000049E4: 0A9B1B4D
	v_mul_f32_e32 v78, v78, v142                               // 0000000049E8: 0A9D1D4E
	v_mul_f32_e32 v79, v79, v143                               // 0000000049EC: 0A9F1F4F
	v_pk_mul_f32 v[4:5], v[80:81], v[80:81]                    // 0000000049F0: D3B14004 1802A150
	v_pk_mul_f32 v[6:7], v[82:83], v[82:83]                    // 0000000049F8: D3B14006 1802A552
	v_pk_fma_f32 v[4:5], v[4:5], s[78:79], v[8:9]              // 000000004A00: D3B04004 1C209D04
	v_pk_fma_f32 v[6:7], v[6:7], s[78:79], v[8:9]              // 000000004A08: D3B04006 1C209D06
	v_pk_mul_f32 v[4:5], v[4:5], v[80:81]                      // 000000004A10: D3B14004 1802A104
	v_pk_mul_f32 v[6:7], v[6:7], v[82:83]                      // 000000004A18: D3B14006 1802A506
	v_pk_mul_f32 v[4:5], v[4:5], s[60:61]                      // 000000004A20: D3B14004 18007904
	v_pk_mul_f32 v[6:7], v[6:7], s[60:61]                      // 000000004A28: D3B14006 18007906
	v_exp_f32_e32 v4, v4                                       // 000000004A30: 7E084104
	v_exp_f32_e32 v5, v5                                       // 000000004A34: 7E0A4105
	v_exp_f32_e32 v6, v6                                       // 000000004A38: 7E0C4106
	v_exp_f32_e32 v7, v7                                       // 000000004A3C: 7E0E4107
	v_add_f32_e64 v4, v4, 1.0                                  // 000000004A40: D1010004 0001E504
	v_add_f32_e64 v5, v5, 1.0                                  // 000000004A48: D1010005 0001E505
	v_add_f32_e64 v6, v6, 1.0                                  // 000000004A50: D1010006 0001E506
	v_add_f32_e64 v7, v7, 1.0                                  // 000000004A58: D1010007 0001E507
	v_rcp_f32_e32 v4, v4                                       // 000000004A60: 7E084504
	v_rcp_f32_e32 v5, v5                                       // 000000004A64: 7E0A4505
	v_rcp_f32_e32 v6, v6                                       // 000000004A68: 7E0C4506
	v_rcp_f32_e32 v7, v7                                       // 000000004A6C: 7E0E4507
	v_mul_f32_e32 v80, v80, v4                                 // 000000004A70: 0AA00950
	v_mul_f32_e32 v81, v81, v5                                 // 000000004A74: 0AA20B51
	v_mul_f32_e32 v82, v82, v6                                 // 000000004A78: 0AA40D52
	v_mul_f32_e32 v83, v83, v7                                 // 000000004A7C: 0AA60F53
	v_mul_f32_e32 v80, v80, v144                               // 000000004A80: 0AA12150
	v_mul_f32_e32 v81, v81, v145                               // 000000004A84: 0AA32351
	v_mul_f32_e32 v82, v82, v146                               // 000000004A88: 0AA52552
	v_mul_f32_e32 v83, v83, v147                               // 000000004A8C: 0AA72753
	v_pk_mul_f32 v[4:5], v[84:85], v[84:85]                    // 000000004A90: D3B14004 1802A954
	v_pk_mul_f32 v[6:7], v[86:87], v[86:87]                    // 000000004A98: D3B14006 1802AD56
	v_pk_fma_f32 v[4:5], v[4:5], s[78:79], v[8:9]              // 000000004AA0: D3B04004 1C209D04
	v_pk_fma_f32 v[6:7], v[6:7], s[78:79], v[8:9]              // 000000004AA8: D3B04006 1C209D06
	v_pk_mul_f32 v[4:5], v[4:5], v[84:85]                      // 000000004AB0: D3B14004 1802A904
	v_pk_mul_f32 v[6:7], v[6:7], v[86:87]                      // 000000004AB8: D3B14006 1802AD06
	v_pk_mul_f32 v[4:5], v[4:5], s[60:61]                      // 000000004AC0: D3B14004 18007904
	v_pk_mul_f32 v[6:7], v[6:7], s[60:61]                      // 000000004AC8: D3B14006 18007906
	v_exp_f32_e32 v4, v4                                       // 000000004AD0: 7E084104
	v_exp_f32_e32 v5, v5                                       // 000000004AD4: 7E0A4105
	v_exp_f32_e32 v6, v6                                       // 000000004AD8: 7E0C4106
	v_exp_f32_e32 v7, v7                                       // 000000004ADC: 7E0E4107
	v_add_f32_e64 v4, v4, 1.0                                  // 000000004AE0: D1010004 0001E504
	v_add_f32_e64 v5, v5, 1.0                                  // 000000004AE8: D1010005 0001E505
	v_add_f32_e64 v6, v6, 1.0                                  // 000000004AF0: D1010006 0001E506
	v_add_f32_e64 v7, v7, 1.0                                  // 000000004AF8: D1010007 0001E507
	v_rcp_f32_e32 v4, v4                                       // 000000004B00: 7E084504
	v_rcp_f32_e32 v5, v5                                       // 000000004B04: 7E0A4505
	v_rcp_f32_e32 v6, v6                                       // 000000004B08: 7E0C4506
	v_rcp_f32_e32 v7, v7                                       // 000000004B0C: 7E0E4507
	v_mul_f32_e32 v84, v84, v4                                 // 000000004B10: 0AA80954
	v_mul_f32_e32 v85, v85, v5                                 // 000000004B14: 0AAA0B55
	v_mul_f32_e32 v86, v86, v6                                 // 000000004B18: 0AAC0D56
	v_mul_f32_e32 v87, v87, v7                                 // 000000004B1C: 0AAE0F57
	v_mul_f32_e32 v84, v84, v148                               // 000000004B20: 0AA92954
	v_mul_f32_e32 v85, v85, v149                               // 000000004B24: 0AAB2B55
	v_mul_f32_e32 v86, v86, v150                               // 000000004B28: 0AAD2D56
	v_mul_f32_e32 v87, v87, v151                               // 000000004B2C: 0AAF2F57
	v_pk_mul_f32 v[4:5], v[88:89], v[88:89]                    // 000000004B30: D3B14004 1802B158
	v_pk_mul_f32 v[6:7], v[90:91], v[90:91]                    // 000000004B38: D3B14006 1802B55A
	v_pk_fma_f32 v[4:5], v[4:5], s[78:79], v[8:9]              // 000000004B40: D3B04004 1C209D04
	v_pk_fma_f32 v[6:7], v[6:7], s[78:79], v[8:9]              // 000000004B48: D3B04006 1C209D06
	v_pk_mul_f32 v[4:5], v[4:5], v[88:89]                      // 000000004B50: D3B14004 1802B104
	v_pk_mul_f32 v[6:7], v[6:7], v[90:91]                      // 000000004B58: D3B14006 1802B506
	v_pk_mul_f32 v[4:5], v[4:5], s[60:61]                      // 000000004B60: D3B14004 18007904
	v_pk_mul_f32 v[6:7], v[6:7], s[60:61]                      // 000000004B68: D3B14006 18007906
	v_exp_f32_e32 v4, v4                                       // 000000004B70: 7E084104
	v_exp_f32_e32 v5, v5                                       // 000000004B74: 7E0A4105
	v_exp_f32_e32 v6, v6                                       // 000000004B78: 7E0C4106
	v_exp_f32_e32 v7, v7                                       // 000000004B7C: 7E0E4107
	v_add_f32_e64 v4, v4, 1.0                                  // 000000004B80: D1010004 0001E504
	v_add_f32_e64 v5, v5, 1.0                                  // 000000004B88: D1010005 0001E505
	v_add_f32_e64 v6, v6, 1.0                                  // 000000004B90: D1010006 0001E506
	v_add_f32_e64 v7, v7, 1.0                                  // 000000004B98: D1010007 0001E507
	v_rcp_f32_e32 v4, v4                                       // 000000004BA0: 7E084504
	v_rcp_f32_e32 v5, v5                                       // 000000004BA4: 7E0A4505
	v_rcp_f32_e32 v6, v6                                       // 000000004BA8: 7E0C4506
	v_rcp_f32_e32 v7, v7                                       // 000000004BAC: 7E0E4507
	v_mul_f32_e32 v88, v88, v4                                 // 000000004BB0: 0AB00958
	v_mul_f32_e32 v89, v89, v5                                 // 000000004BB4: 0AB20B59
	v_mul_f32_e32 v90, v90, v6                                 // 000000004BB8: 0AB40D5A
	v_mul_f32_e32 v91, v91, v7                                 // 000000004BBC: 0AB60F5B
	v_mul_f32_e32 v88, v88, v152                               // 000000004BC0: 0AB13158
	v_mul_f32_e32 v89, v89, v153                               // 000000004BC4: 0AB33359
	v_mul_f32_e32 v90, v90, v154                               // 000000004BC8: 0AB5355A
	v_mul_f32_e32 v91, v91, v155                               // 000000004BCC: 0AB7375B
	v_pk_mul_f32 v[4:5], v[92:93], v[92:93]                    // 000000004BD0: D3B14004 1802B95C
	v_pk_mul_f32 v[6:7], v[94:95], v[94:95]                    // 000000004BD8: D3B14006 1802BD5E
	v_pk_fma_f32 v[4:5], v[4:5], s[78:79], v[8:9]              // 000000004BE0: D3B04004 1C209D04
	v_pk_fma_f32 v[6:7], v[6:7], s[78:79], v[8:9]              // 000000004BE8: D3B04006 1C209D06
	v_pk_mul_f32 v[4:5], v[4:5], v[92:93]                      // 000000004BF0: D3B14004 1802B904
	v_pk_mul_f32 v[6:7], v[6:7], v[94:95]                      // 000000004BF8: D3B14006 1802BD06
	v_pk_mul_f32 v[4:5], v[4:5], s[60:61]                      // 000000004C00: D3B14004 18007904
	v_pk_mul_f32 v[6:7], v[6:7], s[60:61]                      // 000000004C08: D3B14006 18007906
	v_exp_f32_e32 v4, v4                                       // 000000004C10: 7E084104
	v_exp_f32_e32 v5, v5                                       // 000000004C14: 7E0A4105
	v_exp_f32_e32 v6, v6                                       // 000000004C18: 7E0C4106
	v_exp_f32_e32 v7, v7                                       // 000000004C1C: 7E0E4107
	v_add_f32_e64 v4, v4, 1.0                                  // 000000004C20: D1010004 0001E504
	v_add_f32_e64 v5, v5, 1.0                                  // 000000004C28: D1010005 0001E505
	v_add_f32_e64 v6, v6, 1.0                                  // 000000004C30: D1010006 0001E506
	v_add_f32_e64 v7, v7, 1.0                                  // 000000004C38: D1010007 0001E507
	v_rcp_f32_e32 v4, v4                                       // 000000004C40: 7E084504
	v_rcp_f32_e32 v5, v5                                       // 000000004C44: 7E0A4505
	v_rcp_f32_e32 v6, v6                                       // 000000004C48: 7E0C4506
	v_rcp_f32_e32 v7, v7                                       // 000000004C4C: 7E0E4507
	v_mul_f32_e32 v92, v92, v4                                 // 000000004C50: 0AB8095C
	v_mul_f32_e32 v93, v93, v5                                 // 000000004C54: 0ABA0B5D
	v_mul_f32_e32 v94, v94, v6                                 // 000000004C58: 0ABC0D5E
	v_mul_f32_e32 v95, v95, v7                                 // 000000004C5C: 0ABE0F5F
	v_mul_f32_e32 v92, v92, v156                               // 000000004C60: 0AB9395C
	v_mul_f32_e32 v93, v93, v157                               // 000000004C64: 0ABB3B5D
	v_mul_f32_e32 v94, v94, v158                               // 000000004C68: 0ABD3D5E
	v_mul_f32_e32 v95, v95, v159                               // 000000004C6C: 0ABF3F5F
	v_pk_mul_f32 v[4:5], v[96:97], v[96:97]                    // 000000004C70: D3B14004 1802C160
	v_pk_mul_f32 v[6:7], v[98:99], v[98:99]                    // 000000004C78: D3B14006 1802C562
	v_pk_fma_f32 v[4:5], v[4:5], s[78:79], v[8:9]              // 000000004C80: D3B04004 1C209D04
	v_pk_fma_f32 v[6:7], v[6:7], s[78:79], v[8:9]              // 000000004C88: D3B04006 1C209D06
	v_pk_mul_f32 v[4:5], v[4:5], v[96:97]                      // 000000004C90: D3B14004 1802C104
	v_pk_mul_f32 v[6:7], v[6:7], v[98:99]                      // 000000004C98: D3B14006 1802C506
	v_pk_mul_f32 v[4:5], v[4:5], s[60:61]                      // 000000004CA0: D3B14004 18007904
	v_pk_mul_f32 v[6:7], v[6:7], s[60:61]                      // 000000004CA8: D3B14006 18007906
	v_exp_f32_e32 v4, v4                                       // 000000004CB0: 7E084104
	v_exp_f32_e32 v5, v5                                       // 000000004CB4: 7E0A4105
	v_exp_f32_e32 v6, v6                                       // 000000004CB8: 7E0C4106
	v_exp_f32_e32 v7, v7                                       // 000000004CBC: 7E0E4107
	v_add_f32_e64 v4, v4, 1.0                                  // 000000004CC0: D1010004 0001E504
	v_add_f32_e64 v5, v5, 1.0                                  // 000000004CC8: D1010005 0001E505
	v_add_f32_e64 v6, v6, 1.0                                  // 000000004CD0: D1010006 0001E506
	v_add_f32_e64 v7, v7, 1.0                                  // 000000004CD8: D1010007 0001E507
	v_rcp_f32_e32 v4, v4                                       // 000000004CE0: 7E084504
	v_rcp_f32_e32 v5, v5                                       // 000000004CE4: 7E0A4505
	v_rcp_f32_e32 v6, v6                                       // 000000004CE8: 7E0C4506
	v_rcp_f32_e32 v7, v7                                       // 000000004CEC: 7E0E4507
	v_mul_f32_e32 v96, v96, v4                                 // 000000004CF0: 0AC00960
	v_mul_f32_e32 v97, v97, v5                                 // 000000004CF4: 0AC20B61
	v_mul_f32_e32 v98, v98, v6                                 // 000000004CF8: 0AC40D62
	v_mul_f32_e32 v99, v99, v7                                 // 000000004CFC: 0AC60F63
	v_mul_f32_e32 v96, v96, v160                               // 000000004D00: 0AC14160
	v_mul_f32_e32 v97, v97, v161                               // 000000004D04: 0AC34361
	v_mul_f32_e32 v98, v98, v162                               // 000000004D08: 0AC54562
	v_mul_f32_e32 v99, v99, v163                               // 000000004D0C: 0AC74763
	v_pk_mul_f32 v[4:5], v[100:101], v[100:101]                // 000000004D10: D3B14004 1802C964
	v_pk_mul_f32 v[6:7], v[102:103], v[102:103]                // 000000004D18: D3B14006 1802CD66
	v_pk_fma_f32 v[4:5], v[4:5], s[78:79], v[8:9]              // 000000004D20: D3B04004 1C209D04
	v_pk_fma_f32 v[6:7], v[6:7], s[78:79], v[8:9]              // 000000004D28: D3B04006 1C209D06
	v_pk_mul_f32 v[4:5], v[4:5], v[100:101]                    // 000000004D30: D3B14004 1802C904
	v_pk_mul_f32 v[6:7], v[6:7], v[102:103]                    // 000000004D38: D3B14006 1802CD06
	v_pk_mul_f32 v[4:5], v[4:5], s[60:61]                      // 000000004D40: D3B14004 18007904
	v_pk_mul_f32 v[6:7], v[6:7], s[60:61]                      // 000000004D48: D3B14006 18007906
	v_exp_f32_e32 v4, v4                                       // 000000004D50: 7E084104
	v_exp_f32_e32 v5, v5                                       // 000000004D54: 7E0A4105
	v_exp_f32_e32 v6, v6                                       // 000000004D58: 7E0C4106
	v_exp_f32_e32 v7, v7                                       // 000000004D5C: 7E0E4107
	v_add_f32_e64 v4, v4, 1.0                                  // 000000004D60: D1010004 0001E504
	v_add_f32_e64 v5, v5, 1.0                                  // 000000004D68: D1010005 0001E505
	v_add_f32_e64 v6, v6, 1.0                                  // 000000004D70: D1010006 0001E506
	v_add_f32_e64 v7, v7, 1.0                                  // 000000004D78: D1010007 0001E507
	v_rcp_f32_e32 v4, v4                                       // 000000004D80: 7E084504
	v_rcp_f32_e32 v5, v5                                       // 000000004D84: 7E0A4505
	v_rcp_f32_e32 v6, v6                                       // 000000004D88: 7E0C4506
	v_rcp_f32_e32 v7, v7                                       // 000000004D8C: 7E0E4507
	v_mul_f32_e32 v100, v100, v4                               // 000000004D90: 0AC80964
	v_mul_f32_e32 v101, v101, v5                               // 000000004D94: 0ACA0B65
	v_mul_f32_e32 v102, v102, v6                               // 000000004D98: 0ACC0D66
	v_mul_f32_e32 v103, v103, v7                               // 000000004D9C: 0ACE0F67
	v_mul_f32_e32 v100, v100, v164                             // 000000004DA0: 0AC94964
	v_mul_f32_e32 v101, v101, v165                             // 000000004DA4: 0ACB4B65
	v_mul_f32_e32 v102, v102, v166                             // 000000004DA8: 0ACD4D66
	v_mul_f32_e32 v103, v103, v167                             // 000000004DAC: 0ACF4F67
	v_pk_mul_f32 v[4:5], v[104:105], v[104:105]                // 000000004DB0: D3B14004 1802D168
	v_pk_mul_f32 v[6:7], v[106:107], v[106:107]                // 000000004DB8: D3B14006 1802D56A
	v_pk_fma_f32 v[4:5], v[4:5], s[78:79], v[8:9]              // 000000004DC0: D3B04004 1C209D04
	v_pk_fma_f32 v[6:7], v[6:7], s[78:79], v[8:9]              // 000000004DC8: D3B04006 1C209D06
	v_pk_mul_f32 v[4:5], v[4:5], v[104:105]                    // 000000004DD0: D3B14004 1802D104
	v_pk_mul_f32 v[6:7], v[6:7], v[106:107]                    // 000000004DD8: D3B14006 1802D506
	v_pk_mul_f32 v[4:5], v[4:5], s[60:61]                      // 000000004DE0: D3B14004 18007904
	v_pk_mul_f32 v[6:7], v[6:7], s[60:61]                      // 000000004DE8: D3B14006 18007906
	v_exp_f32_e32 v4, v4                                       // 000000004DF0: 7E084104
	v_exp_f32_e32 v5, v5                                       // 000000004DF4: 7E0A4105
	v_exp_f32_e32 v6, v6                                       // 000000004DF8: 7E0C4106
	v_exp_f32_e32 v7, v7                                       // 000000004DFC: 7E0E4107
	v_add_f32_e64 v4, v4, 1.0                                  // 000000004E00: D1010004 0001E504
	v_add_f32_e64 v5, v5, 1.0                                  // 000000004E08: D1010005 0001E505
	v_add_f32_e64 v6, v6, 1.0                                  // 000000004E10: D1010006 0001E506
	v_add_f32_e64 v7, v7, 1.0                                  // 000000004E18: D1010007 0001E507
	v_rcp_f32_e32 v4, v4                                       // 000000004E20: 7E084504
	v_rcp_f32_e32 v5, v5                                       // 000000004E24: 7E0A4505
	v_rcp_f32_e32 v6, v6                                       // 000000004E28: 7E0C4506
	v_rcp_f32_e32 v7, v7                                       // 000000004E2C: 7E0E4507
	v_mul_f32_e32 v104, v104, v4                               // 000000004E30: 0AD00968
	v_mul_f32_e32 v105, v105, v5                               // 000000004E34: 0AD20B69
	v_mul_f32_e32 v106, v106, v6                               // 000000004E38: 0AD40D6A
	v_mul_f32_e32 v107, v107, v7                               // 000000004E3C: 0AD60F6B
	v_mul_f32_e32 v104, v104, v168                             // 000000004E40: 0AD15168
	v_mul_f32_e32 v105, v105, v169                             // 000000004E44: 0AD35369
	v_mul_f32_e32 v106, v106, v170                             // 000000004E48: 0AD5556A
	v_mul_f32_e32 v107, v107, v171                             // 000000004E4C: 0AD7576B
	v_pk_mul_f32 v[4:5], v[108:109], v[108:109]                // 000000004E50: D3B14004 1802D96C
	v_pk_mul_f32 v[6:7], v[110:111], v[110:111]                // 000000004E58: D3B14006 1802DD6E
	v_pk_fma_f32 v[4:5], v[4:5], s[78:79], v[8:9]              // 000000004E60: D3B04004 1C209D04
	v_pk_fma_f32 v[6:7], v[6:7], s[78:79], v[8:9]              // 000000004E68: D3B04006 1C209D06
	v_pk_mul_f32 v[4:5], v[4:5], v[108:109]                    // 000000004E70: D3B14004 1802D904
	v_pk_mul_f32 v[6:7], v[6:7], v[110:111]                    // 000000004E78: D3B14006 1802DD06
	v_pk_mul_f32 v[4:5], v[4:5], s[60:61]                      // 000000004E80: D3B14004 18007904
	v_pk_mul_f32 v[6:7], v[6:7], s[60:61]                      // 000000004E88: D3B14006 18007906
	v_exp_f32_e32 v4, v4                                       // 000000004E90: 7E084104
	v_exp_f32_e32 v5, v5                                       // 000000004E94: 7E0A4105
	v_exp_f32_e32 v6, v6                                       // 000000004E98: 7E0C4106
	v_exp_f32_e32 v7, v7                                       // 000000004E9C: 7E0E4107
	v_add_f32_e64 v4, v4, 1.0                                  // 000000004EA0: D1010004 0001E504
	v_add_f32_e64 v5, v5, 1.0                                  // 000000004EA8: D1010005 0001E505
	v_add_f32_e64 v6, v6, 1.0                                  // 000000004EB0: D1010006 0001E506
	v_add_f32_e64 v7, v7, 1.0                                  // 000000004EB8: D1010007 0001E507
	v_rcp_f32_e32 v4, v4                                       // 000000004EC0: 7E084504
	v_rcp_f32_e32 v5, v5                                       // 000000004EC4: 7E0A4505
	v_rcp_f32_e32 v6, v6                                       // 000000004EC8: 7E0C4506
	v_rcp_f32_e32 v7, v7                                       // 000000004ECC: 7E0E4507
	v_mul_f32_e32 v108, v108, v4                               // 000000004ED0: 0AD8096C
	v_mul_f32_e32 v109, v109, v5                               // 000000004ED4: 0ADA0B6D
	v_mul_f32_e32 v110, v110, v6                               // 000000004ED8: 0ADC0D6E
	v_mul_f32_e32 v111, v111, v7                               // 000000004EDC: 0ADE0F6F
	v_mul_f32_e32 v108, v108, v172                             // 000000004EE0: 0AD9596C
	v_mul_f32_e32 v109, v109, v173                             // 000000004EE4: 0ADB5B6D
	v_mul_f32_e32 v110, v110, v174                             // 000000004EE8: 0ADD5D6E
	v_mul_f32_e32 v111, v111, v175                             // 000000004EEC: 0ADF5F6F
	v_pk_mul_f32 v[4:5], v[112:113], v[112:113]                // 000000004EF0: D3B14004 1802E170
	v_pk_mul_f32 v[6:7], v[114:115], v[114:115]                // 000000004EF8: D3B14006 1802E572
	v_pk_fma_f32 v[4:5], v[4:5], s[78:79], v[8:9]              // 000000004F00: D3B04004 1C209D04
	v_pk_fma_f32 v[6:7], v[6:7], s[78:79], v[8:9]              // 000000004F08: D3B04006 1C209D06
	v_pk_mul_f32 v[4:5], v[4:5], v[112:113]                    // 000000004F10: D3B14004 1802E104
	v_pk_mul_f32 v[6:7], v[6:7], v[114:115]                    // 000000004F18: D3B14006 1802E506
	v_pk_mul_f32 v[4:5], v[4:5], s[60:61]                      // 000000004F20: D3B14004 18007904
	v_pk_mul_f32 v[6:7], v[6:7], s[60:61]                      // 000000004F28: D3B14006 18007906
	v_exp_f32_e32 v4, v4                                       // 000000004F30: 7E084104
	v_exp_f32_e32 v5, v5                                       // 000000004F34: 7E0A4105
	v_exp_f32_e32 v6, v6                                       // 000000004F38: 7E0C4106
	v_exp_f32_e32 v7, v7                                       // 000000004F3C: 7E0E4107
	v_add_f32_e64 v4, v4, 1.0                                  // 000000004F40: D1010004 0001E504
	v_add_f32_e64 v5, v5, 1.0                                  // 000000004F48: D1010005 0001E505
	v_add_f32_e64 v6, v6, 1.0                                  // 000000004F50: D1010006 0001E506
	v_add_f32_e64 v7, v7, 1.0                                  // 000000004F58: D1010007 0001E507
	v_rcp_f32_e32 v4, v4                                       // 000000004F60: 7E084504
	v_rcp_f32_e32 v5, v5                                       // 000000004F64: 7E0A4505
	v_rcp_f32_e32 v6, v6                                       // 000000004F68: 7E0C4506
	v_rcp_f32_e32 v7, v7                                       // 000000004F6C: 7E0E4507
	v_mul_f32_e32 v112, v112, v4                               // 000000004F70: 0AE00970
	v_mul_f32_e32 v113, v113, v5                               // 000000004F74: 0AE20B71
	v_mul_f32_e32 v114, v114, v6                               // 000000004F78: 0AE40D72
	v_mul_f32_e32 v115, v115, v7                               // 000000004F7C: 0AE60F73
	v_mul_f32_e32 v112, v112, v176                             // 000000004F80: 0AE16170
	v_mul_f32_e32 v113, v113, v177                             // 000000004F84: 0AE36371
	v_mul_f32_e32 v114, v114, v178                             // 000000004F88: 0AE56572
	v_mul_f32_e32 v115, v115, v179                             // 000000004F8C: 0AE76773
	v_pk_mul_f32 v[4:5], v[116:117], v[116:117]                // 000000004F90: D3B14004 1802E974
	v_pk_mul_f32 v[6:7], v[118:119], v[118:119]                // 000000004F98: D3B14006 1802ED76
	v_pk_fma_f32 v[4:5], v[4:5], s[78:79], v[8:9]              // 000000004FA0: D3B04004 1C209D04
	v_pk_fma_f32 v[6:7], v[6:7], s[78:79], v[8:9]              // 000000004FA8: D3B04006 1C209D06
	v_pk_mul_f32 v[4:5], v[4:5], v[116:117]                    // 000000004FB0: D3B14004 1802E904
	v_pk_mul_f32 v[6:7], v[6:7], v[118:119]                    // 000000004FB8: D3B14006 1802ED06
	v_pk_mul_f32 v[4:5], v[4:5], s[60:61]                      // 000000004FC0: D3B14004 18007904
	v_pk_mul_f32 v[6:7], v[6:7], s[60:61]                      // 000000004FC8: D3B14006 18007906
	v_exp_f32_e32 v4, v4                                       // 000000004FD0: 7E084104
	v_exp_f32_e32 v5, v5                                       // 000000004FD4: 7E0A4105
	v_exp_f32_e32 v6, v6                                       // 000000004FD8: 7E0C4106
	v_exp_f32_e32 v7, v7                                       // 000000004FDC: 7E0E4107
	v_add_f32_e64 v4, v4, 1.0                                  // 000000004FE0: D1010004 0001E504
	v_add_f32_e64 v5, v5, 1.0                                  // 000000004FE8: D1010005 0001E505
	v_add_f32_e64 v6, v6, 1.0                                  // 000000004FF0: D1010006 0001E506
	v_add_f32_e64 v7, v7, 1.0                                  // 000000004FF8: D1010007 0001E507
	v_rcp_f32_e32 v4, v4                                       // 000000005000: 7E084504
	v_rcp_f32_e32 v5, v5                                       // 000000005004: 7E0A4505
	v_rcp_f32_e32 v6, v6                                       // 000000005008: 7E0C4506
	v_rcp_f32_e32 v7, v7                                       // 00000000500C: 7E0E4507
	v_mul_f32_e32 v116, v116, v4                               // 000000005010: 0AE80974
	v_mul_f32_e32 v117, v117, v5                               // 000000005014: 0AEA0B75
	v_mul_f32_e32 v118, v118, v6                               // 000000005018: 0AEC0D76
	v_mul_f32_e32 v119, v119, v7                               // 00000000501C: 0AEE0F77
	v_mul_f32_e32 v116, v116, v180                             // 000000005020: 0AE96974
	v_mul_f32_e32 v117, v117, v181                             // 000000005024: 0AEB6B75
	v_mul_f32_e32 v118, v118, v182                             // 000000005028: 0AED6D76
	v_mul_f32_e32 v119, v119, v183                             // 00000000502C: 0AEF6F77
	s_branch label_0B8D                                        // 000000005030: BF820200

0000000000005034 <label_098D>:
	v_mul_f32_e64 v4, -v56, s6                                 // 000000005034: D1050004 20000D38
	v_mul_f32_e64 v5, -v57, s6                                 // 00000000503C: D1050005 20000D39
	v_mul_f32_e64 v6, -v58, s6                                 // 000000005044: D1050006 20000D3A
	v_mul_f32_e64 v7, -v59, s6                                 // 00000000504C: D1050007 20000D3B
	v_exp_f32_e32 v4, v4                                       // 000000005054: 7E084104
	v_exp_f32_e32 v5, v5                                       // 000000005058: 7E0A4105
	v_exp_f32_e32 v6, v6                                       // 00000000505C: 7E0C4106
	v_exp_f32_e32 v7, v7                                       // 000000005060: 7E0E4107
	v_add_f32_e64 v4, v4, 1.0                                  // 000000005064: D1010004 0001E504
	v_add_f32_e64 v5, v5, 1.0                                  // 00000000506C: D1010005 0001E505
	v_add_f32_e64 v6, v6, 1.0                                  // 000000005074: D1010006 0001E506
	v_add_f32_e64 v7, v7, 1.0                                  // 00000000507C: D1010007 0001E507
	v_rcp_f32_e32 v4, v4                                       // 000000005084: 7E084504
	v_rcp_f32_e32 v5, v5                                       // 000000005088: 7E0A4505
	v_rcp_f32_e32 v6, v6                                       // 00000000508C: 7E0C4506
	v_rcp_f32_e32 v7, v7                                       // 000000005090: 7E0E4507
	v_mul_f32_e32 v56, v56, v4                                 // 000000005094: 0A700938
	v_mul_f32_e32 v57, v57, v5                                 // 000000005098: 0A720B39
	v_mul_f32_e32 v58, v58, v6                                 // 00000000509C: 0A740D3A
	v_mul_f32_e32 v59, v59, v7                                 // 0000000050A0: 0A760F3B
	v_mul_f32_e32 v56, v56, v120                               // 0000000050A4: 0A70F138
	v_mul_f32_e32 v57, v57, v121                               // 0000000050A8: 0A72F339
	v_mul_f32_e32 v58, v58, v122                               // 0000000050AC: 0A74F53A
	v_mul_f32_e32 v59, v59, v123                               // 0000000050B0: 0A76F73B
	v_mul_f32_e64 v4, -v60, s6                                 // 0000000050B4: D1050004 20000D3C
	v_mul_f32_e64 v5, -v61, s6                                 // 0000000050BC: D1050005 20000D3D
	v_mul_f32_e64 v6, -v62, s6                                 // 0000000050C4: D1050006 20000D3E
	v_mul_f32_e64 v7, -v63, s6                                 // 0000000050CC: D1050007 20000D3F
	v_exp_f32_e32 v4, v4                                       // 0000000050D4: 7E084104
	v_exp_f32_e32 v5, v5                                       // 0000000050D8: 7E0A4105
	v_exp_f32_e32 v6, v6                                       // 0000000050DC: 7E0C4106
	v_exp_f32_e32 v7, v7                                       // 0000000050E0: 7E0E4107
	v_add_f32_e64 v4, v4, 1.0                                  // 0000000050E4: D1010004 0001E504
	v_add_f32_e64 v5, v5, 1.0                                  // 0000000050EC: D1010005 0001E505
	v_add_f32_e64 v6, v6, 1.0                                  // 0000000050F4: D1010006 0001E506
	v_add_f32_e64 v7, v7, 1.0                                  // 0000000050FC: D1010007 0001E507
	v_rcp_f32_e32 v4, v4                                       // 000000005104: 7E084504
	v_rcp_f32_e32 v5, v5                                       // 000000005108: 7E0A4505
	v_rcp_f32_e32 v6, v6                                       // 00000000510C: 7E0C4506
	v_rcp_f32_e32 v7, v7                                       // 000000005110: 7E0E4507
	v_mul_f32_e32 v60, v60, v4                                 // 000000005114: 0A78093C
	v_mul_f32_e32 v61, v61, v5                                 // 000000005118: 0A7A0B3D
	v_mul_f32_e32 v62, v62, v6                                 // 00000000511C: 0A7C0D3E
	v_mul_f32_e32 v63, v63, v7                                 // 000000005120: 0A7E0F3F
	v_mul_f32_e32 v60, v60, v124                               // 000000005124: 0A78F93C
	v_mul_f32_e32 v61, v61, v125                               // 000000005128: 0A7AFB3D
	v_mul_f32_e32 v62, v62, v126                               // 00000000512C: 0A7CFD3E
	v_mul_f32_e32 v63, v63, v127                               // 000000005130: 0A7EFF3F
	v_mul_f32_e64 v4, -v64, s6                                 // 000000005134: D1050004 20000D40
	v_mul_f32_e64 v5, -v65, s6                                 // 00000000513C: D1050005 20000D41
	v_mul_f32_e64 v6, -v66, s6                                 // 000000005144: D1050006 20000D42
	v_mul_f32_e64 v7, -v67, s6                                 // 00000000514C: D1050007 20000D43
	v_exp_f32_e32 v4, v4                                       // 000000005154: 7E084104
	v_exp_f32_e32 v5, v5                                       // 000000005158: 7E0A4105
	v_exp_f32_e32 v6, v6                                       // 00000000515C: 7E0C4106
	v_exp_f32_e32 v7, v7                                       // 000000005160: 7E0E4107
	v_add_f32_e64 v4, v4, 1.0                                  // 000000005164: D1010004 0001E504
	v_add_f32_e64 v5, v5, 1.0                                  // 00000000516C: D1010005 0001E505
	v_add_f32_e64 v6, v6, 1.0                                  // 000000005174: D1010006 0001E506
	v_add_f32_e64 v7, v7, 1.0                                  // 00000000517C: D1010007 0001E507
	v_rcp_f32_e32 v4, v4                                       // 000000005184: 7E084504
	v_rcp_f32_e32 v5, v5                                       // 000000005188: 7E0A4505
	v_rcp_f32_e32 v6, v6                                       // 00000000518C: 7E0C4506
	v_rcp_f32_e32 v7, v7                                       // 000000005190: 7E0E4507
	v_mul_f32_e32 v64, v64, v4                                 // 000000005194: 0A800940
	v_mul_f32_e32 v65, v65, v5                                 // 000000005198: 0A820B41
	v_mul_f32_e32 v66, v66, v6                                 // 00000000519C: 0A840D42
	v_mul_f32_e32 v67, v67, v7                                 // 0000000051A0: 0A860F43
	v_mul_f32_e32 v64, v64, v128                               // 0000000051A4: 0A810140
	v_mul_f32_e32 v65, v65, v129                               // 0000000051A8: 0A830341
	v_mul_f32_e32 v66, v66, v130                               // 0000000051AC: 0A850542
	v_mul_f32_e32 v67, v67, v131                               // 0000000051B0: 0A870743
	v_mul_f32_e64 v4, -v68, s6                                 // 0000000051B4: D1050004 20000D44
	v_mul_f32_e64 v5, -v69, s6                                 // 0000000051BC: D1050005 20000D45
	v_mul_f32_e64 v6, -v70, s6                                 // 0000000051C4: D1050006 20000D46
	v_mul_f32_e64 v7, -v71, s6                                 // 0000000051CC: D1050007 20000D47
	v_exp_f32_e32 v4, v4                                       // 0000000051D4: 7E084104
	v_exp_f32_e32 v5, v5                                       // 0000000051D8: 7E0A4105
	v_exp_f32_e32 v6, v6                                       // 0000000051DC: 7E0C4106
	v_exp_f32_e32 v7, v7                                       // 0000000051E0: 7E0E4107
	v_add_f32_e64 v4, v4, 1.0                                  // 0000000051E4: D1010004 0001E504
	v_add_f32_e64 v5, v5, 1.0                                  // 0000000051EC: D1010005 0001E505
	v_add_f32_e64 v6, v6, 1.0                                  // 0000000051F4: D1010006 0001E506
	v_add_f32_e64 v7, v7, 1.0                                  // 0000000051FC: D1010007 0001E507
	v_rcp_f32_e32 v4, v4                                       // 000000005204: 7E084504
	v_rcp_f32_e32 v5, v5                                       // 000000005208: 7E0A4505
	v_rcp_f32_e32 v6, v6                                       // 00000000520C: 7E0C4506
	v_rcp_f32_e32 v7, v7                                       // 000000005210: 7E0E4507
	v_mul_f32_e32 v68, v68, v4                                 // 000000005214: 0A880944
	v_mul_f32_e32 v69, v69, v5                                 // 000000005218: 0A8A0B45
	v_mul_f32_e32 v70, v70, v6                                 // 00000000521C: 0A8C0D46
	v_mul_f32_e32 v71, v71, v7                                 // 000000005220: 0A8E0F47
	v_mul_f32_e32 v68, v68, v132                               // 000000005224: 0A890944
	v_mul_f32_e32 v69, v69, v133                               // 000000005228: 0A8B0B45
	v_mul_f32_e32 v70, v70, v134                               // 00000000522C: 0A8D0D46
	v_mul_f32_e32 v71, v71, v135                               // 000000005230: 0A8F0F47
	v_mul_f32_e64 v4, -v72, s6                                 // 000000005234: D1050004 20000D48
	v_mul_f32_e64 v5, -v73, s6                                 // 00000000523C: D1050005 20000D49
	v_mul_f32_e64 v6, -v74, s6                                 // 000000005244: D1050006 20000D4A
	v_mul_f32_e64 v7, -v75, s6                                 // 00000000524C: D1050007 20000D4B
	v_exp_f32_e32 v4, v4                                       // 000000005254: 7E084104
	v_exp_f32_e32 v5, v5                                       // 000000005258: 7E0A4105
	v_exp_f32_e32 v6, v6                                       // 00000000525C: 7E0C4106
	v_exp_f32_e32 v7, v7                                       // 000000005260: 7E0E4107
	v_add_f32_e64 v4, v4, 1.0                                  // 000000005264: D1010004 0001E504
	v_add_f32_e64 v5, v5, 1.0                                  // 00000000526C: D1010005 0001E505
	v_add_f32_e64 v6, v6, 1.0                                  // 000000005274: D1010006 0001E506
	v_add_f32_e64 v7, v7, 1.0                                  // 00000000527C: D1010007 0001E507
	v_rcp_f32_e32 v4, v4                                       // 000000005284: 7E084504
	v_rcp_f32_e32 v5, v5                                       // 000000005288: 7E0A4505
	v_rcp_f32_e32 v6, v6                                       // 00000000528C: 7E0C4506
	v_rcp_f32_e32 v7, v7                                       // 000000005290: 7E0E4507
	v_mul_f32_e32 v72, v72, v4                                 // 000000005294: 0A900948
	v_mul_f32_e32 v73, v73, v5                                 // 000000005298: 0A920B49
	v_mul_f32_e32 v74, v74, v6                                 // 00000000529C: 0A940D4A
	v_mul_f32_e32 v75, v75, v7                                 // 0000000052A0: 0A960F4B
	v_mul_f32_e32 v72, v72, v136                               // 0000000052A4: 0A911148
	v_mul_f32_e32 v73, v73, v137                               // 0000000052A8: 0A931349
	v_mul_f32_e32 v74, v74, v138                               // 0000000052AC: 0A95154A
	v_mul_f32_e32 v75, v75, v139                               // 0000000052B0: 0A97174B
	v_mul_f32_e64 v4, -v76, s6                                 // 0000000052B4: D1050004 20000D4C
	v_mul_f32_e64 v5, -v77, s6                                 // 0000000052BC: D1050005 20000D4D
	v_mul_f32_e64 v6, -v78, s6                                 // 0000000052C4: D1050006 20000D4E
	v_mul_f32_e64 v7, -v79, s6                                 // 0000000052CC: D1050007 20000D4F
	v_exp_f32_e32 v4, v4                                       // 0000000052D4: 7E084104
	v_exp_f32_e32 v5, v5                                       // 0000000052D8: 7E0A4105
	v_exp_f32_e32 v6, v6                                       // 0000000052DC: 7E0C4106
	v_exp_f32_e32 v7, v7                                       // 0000000052E0: 7E0E4107
	v_add_f32_e64 v4, v4, 1.0                                  // 0000000052E4: D1010004 0001E504
	v_add_f32_e64 v5, v5, 1.0                                  // 0000000052EC: D1010005 0001E505
	v_add_f32_e64 v6, v6, 1.0                                  // 0000000052F4: D1010006 0001E506
	v_add_f32_e64 v7, v7, 1.0                                  // 0000000052FC: D1010007 0001E507
	v_rcp_f32_e32 v4, v4                                       // 000000005304: 7E084504
	v_rcp_f32_e32 v5, v5                                       // 000000005308: 7E0A4505
	v_rcp_f32_e32 v6, v6                                       // 00000000530C: 7E0C4506
	v_rcp_f32_e32 v7, v7                                       // 000000005310: 7E0E4507
	v_mul_f32_e32 v76, v76, v4                                 // 000000005314: 0A98094C
	v_mul_f32_e32 v77, v77, v5                                 // 000000005318: 0A9A0B4D
	v_mul_f32_e32 v78, v78, v6                                 // 00000000531C: 0A9C0D4E
	v_mul_f32_e32 v79, v79, v7                                 // 000000005320: 0A9E0F4F
	v_mul_f32_e32 v76, v76, v140                               // 000000005324: 0A99194C
	v_mul_f32_e32 v77, v77, v141                               // 000000005328: 0A9B1B4D
	v_mul_f32_e32 v78, v78, v142                               // 00000000532C: 0A9D1D4E
	v_mul_f32_e32 v79, v79, v143                               // 000000005330: 0A9F1F4F
	v_mul_f32_e64 v4, -v80, s6                                 // 000000005334: D1050004 20000D50
	v_mul_f32_e64 v5, -v81, s6                                 // 00000000533C: D1050005 20000D51
	v_mul_f32_e64 v6, -v82, s6                                 // 000000005344: D1050006 20000D52
	v_mul_f32_e64 v7, -v83, s6                                 // 00000000534C: D1050007 20000D53
	v_exp_f32_e32 v4, v4                                       // 000000005354: 7E084104
	v_exp_f32_e32 v5, v5                                       // 000000005358: 7E0A4105
	v_exp_f32_e32 v6, v6                                       // 00000000535C: 7E0C4106
	v_exp_f32_e32 v7, v7                                       // 000000005360: 7E0E4107
	v_add_f32_e64 v4, v4, 1.0                                  // 000000005364: D1010004 0001E504
	v_add_f32_e64 v5, v5, 1.0                                  // 00000000536C: D1010005 0001E505
	v_add_f32_e64 v6, v6, 1.0                                  // 000000005374: D1010006 0001E506
	v_add_f32_e64 v7, v7, 1.0                                  // 00000000537C: D1010007 0001E507
	v_rcp_f32_e32 v4, v4                                       // 000000005384: 7E084504
	v_rcp_f32_e32 v5, v5                                       // 000000005388: 7E0A4505
	v_rcp_f32_e32 v6, v6                                       // 00000000538C: 7E0C4506
	v_rcp_f32_e32 v7, v7                                       // 000000005390: 7E0E4507
	v_mul_f32_e32 v80, v80, v4                                 // 000000005394: 0AA00950
	v_mul_f32_e32 v81, v81, v5                                 // 000000005398: 0AA20B51
	v_mul_f32_e32 v82, v82, v6                                 // 00000000539C: 0AA40D52
	v_mul_f32_e32 v83, v83, v7                                 // 0000000053A0: 0AA60F53
	v_mul_f32_e32 v80, v80, v144                               // 0000000053A4: 0AA12150
	v_mul_f32_e32 v81, v81, v145                               // 0000000053A8: 0AA32351
	v_mul_f32_e32 v82, v82, v146                               // 0000000053AC: 0AA52552
	v_mul_f32_e32 v83, v83, v147                               // 0000000053B0: 0AA72753
	v_mul_f32_e64 v4, -v84, s6                                 // 0000000053B4: D1050004 20000D54
	v_mul_f32_e64 v5, -v85, s6                                 // 0000000053BC: D1050005 20000D55
	v_mul_f32_e64 v6, -v86, s6                                 // 0000000053C4: D1050006 20000D56
	v_mul_f32_e64 v7, -v87, s6                                 // 0000000053CC: D1050007 20000D57
	v_exp_f32_e32 v4, v4                                       // 0000000053D4: 7E084104
	v_exp_f32_e32 v5, v5                                       // 0000000053D8: 7E0A4105
	v_exp_f32_e32 v6, v6                                       // 0000000053DC: 7E0C4106
	v_exp_f32_e32 v7, v7                                       // 0000000053E0: 7E0E4107
	v_add_f32_e64 v4, v4, 1.0                                  // 0000000053E4: D1010004 0001E504
	v_add_f32_e64 v5, v5, 1.0                                  // 0000000053EC: D1010005 0001E505
	v_add_f32_e64 v6, v6, 1.0                                  // 0000000053F4: D1010006 0001E506
	v_add_f32_e64 v7, v7, 1.0                                  // 0000000053FC: D1010007 0001E507
	v_rcp_f32_e32 v4, v4                                       // 000000005404: 7E084504
	v_rcp_f32_e32 v5, v5                                       // 000000005408: 7E0A4505
	v_rcp_f32_e32 v6, v6                                       // 00000000540C: 7E0C4506
	v_rcp_f32_e32 v7, v7                                       // 000000005410: 7E0E4507
	v_mul_f32_e32 v84, v84, v4                                 // 000000005414: 0AA80954
	v_mul_f32_e32 v85, v85, v5                                 // 000000005418: 0AAA0B55
	v_mul_f32_e32 v86, v86, v6                                 // 00000000541C: 0AAC0D56
	v_mul_f32_e32 v87, v87, v7                                 // 000000005420: 0AAE0F57
	v_mul_f32_e32 v84, v84, v148                               // 000000005424: 0AA92954
	v_mul_f32_e32 v85, v85, v149                               // 000000005428: 0AAB2B55
	v_mul_f32_e32 v86, v86, v150                               // 00000000542C: 0AAD2D56
	v_mul_f32_e32 v87, v87, v151                               // 000000005430: 0AAF2F57
	v_mul_f32_e64 v4, -v88, s6                                 // 000000005434: D1050004 20000D58
	v_mul_f32_e64 v5, -v89, s6                                 // 00000000543C: D1050005 20000D59
	v_mul_f32_e64 v6, -v90, s6                                 // 000000005444: D1050006 20000D5A
	v_mul_f32_e64 v7, -v91, s6                                 // 00000000544C: D1050007 20000D5B
	v_exp_f32_e32 v4, v4                                       // 000000005454: 7E084104
	v_exp_f32_e32 v5, v5                                       // 000000005458: 7E0A4105
	v_exp_f32_e32 v6, v6                                       // 00000000545C: 7E0C4106
	v_exp_f32_e32 v7, v7                                       // 000000005460: 7E0E4107
	v_add_f32_e64 v4, v4, 1.0                                  // 000000005464: D1010004 0001E504
	v_add_f32_e64 v5, v5, 1.0                                  // 00000000546C: D1010005 0001E505
	v_add_f32_e64 v6, v6, 1.0                                  // 000000005474: D1010006 0001E506
	v_add_f32_e64 v7, v7, 1.0                                  // 00000000547C: D1010007 0001E507
	v_rcp_f32_e32 v4, v4                                       // 000000005484: 7E084504
	v_rcp_f32_e32 v5, v5                                       // 000000005488: 7E0A4505
	v_rcp_f32_e32 v6, v6                                       // 00000000548C: 7E0C4506
	v_rcp_f32_e32 v7, v7                                       // 000000005490: 7E0E4507
	v_mul_f32_e32 v88, v88, v4                                 // 000000005494: 0AB00958
	v_mul_f32_e32 v89, v89, v5                                 // 000000005498: 0AB20B59
	v_mul_f32_e32 v90, v90, v6                                 // 00000000549C: 0AB40D5A
	v_mul_f32_e32 v91, v91, v7                                 // 0000000054A0: 0AB60F5B
	v_mul_f32_e32 v88, v88, v152                               // 0000000054A4: 0AB13158
	v_mul_f32_e32 v89, v89, v153                               // 0000000054A8: 0AB33359
	v_mul_f32_e32 v90, v90, v154                               // 0000000054AC: 0AB5355A
	v_mul_f32_e32 v91, v91, v155                               // 0000000054B0: 0AB7375B
	v_mul_f32_e64 v4, -v92, s6                                 // 0000000054B4: D1050004 20000D5C
	v_mul_f32_e64 v5, -v93, s6                                 // 0000000054BC: D1050005 20000D5D
	v_mul_f32_e64 v6, -v94, s6                                 // 0000000054C4: D1050006 20000D5E
	v_mul_f32_e64 v7, -v95, s6                                 // 0000000054CC: D1050007 20000D5F
	v_exp_f32_e32 v4, v4                                       // 0000000054D4: 7E084104
	v_exp_f32_e32 v5, v5                                       // 0000000054D8: 7E0A4105
	v_exp_f32_e32 v6, v6                                       // 0000000054DC: 7E0C4106
	v_exp_f32_e32 v7, v7                                       // 0000000054E0: 7E0E4107
	v_add_f32_e64 v4, v4, 1.0                                  // 0000000054E4: D1010004 0001E504
	v_add_f32_e64 v5, v5, 1.0                                  // 0000000054EC: D1010005 0001E505
	v_add_f32_e64 v6, v6, 1.0                                  // 0000000054F4: D1010006 0001E506
	v_add_f32_e64 v7, v7, 1.0                                  // 0000000054FC: D1010007 0001E507
	v_rcp_f32_e32 v4, v4                                       // 000000005504: 7E084504
	v_rcp_f32_e32 v5, v5                                       // 000000005508: 7E0A4505
	v_rcp_f32_e32 v6, v6                                       // 00000000550C: 7E0C4506
	v_rcp_f32_e32 v7, v7                                       // 000000005510: 7E0E4507
	v_mul_f32_e32 v92, v92, v4                                 // 000000005514: 0AB8095C
	v_mul_f32_e32 v93, v93, v5                                 // 000000005518: 0ABA0B5D
	v_mul_f32_e32 v94, v94, v6                                 // 00000000551C: 0ABC0D5E
	v_mul_f32_e32 v95, v95, v7                                 // 000000005520: 0ABE0F5F
	v_mul_f32_e32 v92, v92, v156                               // 000000005524: 0AB9395C
	v_mul_f32_e32 v93, v93, v157                               // 000000005528: 0ABB3B5D
	v_mul_f32_e32 v94, v94, v158                               // 00000000552C: 0ABD3D5E
	v_mul_f32_e32 v95, v95, v159                               // 000000005530: 0ABF3F5F
	v_mul_f32_e64 v4, -v96, s6                                 // 000000005534: D1050004 20000D60
	v_mul_f32_e64 v5, -v97, s6                                 // 00000000553C: D1050005 20000D61
	v_mul_f32_e64 v6, -v98, s6                                 // 000000005544: D1050006 20000D62
	v_mul_f32_e64 v7, -v99, s6                                 // 00000000554C: D1050007 20000D63
	v_exp_f32_e32 v4, v4                                       // 000000005554: 7E084104
	v_exp_f32_e32 v5, v5                                       // 000000005558: 7E0A4105
	v_exp_f32_e32 v6, v6                                       // 00000000555C: 7E0C4106
	v_exp_f32_e32 v7, v7                                       // 000000005560: 7E0E4107
	v_add_f32_e64 v4, v4, 1.0                                  // 000000005564: D1010004 0001E504
	v_add_f32_e64 v5, v5, 1.0                                  // 00000000556C: D1010005 0001E505
	v_add_f32_e64 v6, v6, 1.0                                  // 000000005574: D1010006 0001E506
	v_add_f32_e64 v7, v7, 1.0                                  // 00000000557C: D1010007 0001E507
	v_rcp_f32_e32 v4, v4                                       // 000000005584: 7E084504
	v_rcp_f32_e32 v5, v5                                       // 000000005588: 7E0A4505
	v_rcp_f32_e32 v6, v6                                       // 00000000558C: 7E0C4506
	v_rcp_f32_e32 v7, v7                                       // 000000005590: 7E0E4507
	v_mul_f32_e32 v96, v96, v4                                 // 000000005594: 0AC00960
	v_mul_f32_e32 v97, v97, v5                                 // 000000005598: 0AC20B61
	v_mul_f32_e32 v98, v98, v6                                 // 00000000559C: 0AC40D62
	v_mul_f32_e32 v99, v99, v7                                 // 0000000055A0: 0AC60F63
	v_mul_f32_e32 v96, v96, v160                               // 0000000055A4: 0AC14160
	v_mul_f32_e32 v97, v97, v161                               // 0000000055A8: 0AC34361
	v_mul_f32_e32 v98, v98, v162                               // 0000000055AC: 0AC54562
	v_mul_f32_e32 v99, v99, v163                               // 0000000055B0: 0AC74763
	v_mul_f32_e64 v4, -v100, s6                                // 0000000055B4: D1050004 20000D64
	v_mul_f32_e64 v5, -v101, s6                                // 0000000055BC: D1050005 20000D65
	v_mul_f32_e64 v6, -v102, s6                                // 0000000055C4: D1050006 20000D66
	v_mul_f32_e64 v7, -v103, s6                                // 0000000055CC: D1050007 20000D67
	v_exp_f32_e32 v4, v4                                       // 0000000055D4: 7E084104
	v_exp_f32_e32 v5, v5                                       // 0000000055D8: 7E0A4105
	v_exp_f32_e32 v6, v6                                       // 0000000055DC: 7E0C4106
	v_exp_f32_e32 v7, v7                                       // 0000000055E0: 7E0E4107
	v_add_f32_e64 v4, v4, 1.0                                  // 0000000055E4: D1010004 0001E504
	v_add_f32_e64 v5, v5, 1.0                                  // 0000000055EC: D1010005 0001E505
	v_add_f32_e64 v6, v6, 1.0                                  // 0000000055F4: D1010006 0001E506
	v_add_f32_e64 v7, v7, 1.0                                  // 0000000055FC: D1010007 0001E507
	v_rcp_f32_e32 v4, v4                                       // 000000005604: 7E084504
	v_rcp_f32_e32 v5, v5                                       // 000000005608: 7E0A4505
	v_rcp_f32_e32 v6, v6                                       // 00000000560C: 7E0C4506
	v_rcp_f32_e32 v7, v7                                       // 000000005610: 7E0E4507
	v_mul_f32_e32 v100, v100, v4                               // 000000005614: 0AC80964
	v_mul_f32_e32 v101, v101, v5                               // 000000005618: 0ACA0B65
	v_mul_f32_e32 v102, v102, v6                               // 00000000561C: 0ACC0D66
	v_mul_f32_e32 v103, v103, v7                               // 000000005620: 0ACE0F67
	v_mul_f32_e32 v100, v100, v164                             // 000000005624: 0AC94964
	v_mul_f32_e32 v101, v101, v165                             // 000000005628: 0ACB4B65
	v_mul_f32_e32 v102, v102, v166                             // 00000000562C: 0ACD4D66
	v_mul_f32_e32 v103, v103, v167                             // 000000005630: 0ACF4F67
	v_mul_f32_e64 v4, -v104, s6                                // 000000005634: D1050004 20000D68
	v_mul_f32_e64 v5, -v105, s6                                // 00000000563C: D1050005 20000D69
	v_mul_f32_e64 v6, -v106, s6                                // 000000005644: D1050006 20000D6A
	v_mul_f32_e64 v7, -v107, s6                                // 00000000564C: D1050007 20000D6B
	v_exp_f32_e32 v4, v4                                       // 000000005654: 7E084104
	v_exp_f32_e32 v5, v5                                       // 000000005658: 7E0A4105
	v_exp_f32_e32 v6, v6                                       // 00000000565C: 7E0C4106
	v_exp_f32_e32 v7, v7                                       // 000000005660: 7E0E4107
	v_add_f32_e64 v4, v4, 1.0                                  // 000000005664: D1010004 0001E504
	v_add_f32_e64 v5, v5, 1.0                                  // 00000000566C: D1010005 0001E505
	v_add_f32_e64 v6, v6, 1.0                                  // 000000005674: D1010006 0001E506
	v_add_f32_e64 v7, v7, 1.0                                  // 00000000567C: D1010007 0001E507
	v_rcp_f32_e32 v4, v4                                       // 000000005684: 7E084504
	v_rcp_f32_e32 v5, v5                                       // 000000005688: 7E0A4505
	v_rcp_f32_e32 v6, v6                                       // 00000000568C: 7E0C4506
	v_rcp_f32_e32 v7, v7                                       // 000000005690: 7E0E4507
	v_mul_f32_e32 v104, v104, v4                               // 000000005694: 0AD00968
	v_mul_f32_e32 v105, v105, v5                               // 000000005698: 0AD20B69
	v_mul_f32_e32 v106, v106, v6                               // 00000000569C: 0AD40D6A
	v_mul_f32_e32 v107, v107, v7                               // 0000000056A0: 0AD60F6B
	v_mul_f32_e32 v104, v104, v168                             // 0000000056A4: 0AD15168
	v_mul_f32_e32 v105, v105, v169                             // 0000000056A8: 0AD35369
	v_mul_f32_e32 v106, v106, v170                             // 0000000056AC: 0AD5556A
	v_mul_f32_e32 v107, v107, v171                             // 0000000056B0: 0AD7576B
	v_mul_f32_e64 v4, -v108, s6                                // 0000000056B4: D1050004 20000D6C
	v_mul_f32_e64 v5, -v109, s6                                // 0000000056BC: D1050005 20000D6D
	v_mul_f32_e64 v6, -v110, s6                                // 0000000056C4: D1050006 20000D6E
	v_mul_f32_e64 v7, -v111, s6                                // 0000000056CC: D1050007 20000D6F
	v_exp_f32_e32 v4, v4                                       // 0000000056D4: 7E084104
	v_exp_f32_e32 v5, v5                                       // 0000000056D8: 7E0A4105
	v_exp_f32_e32 v6, v6                                       // 0000000056DC: 7E0C4106
	v_exp_f32_e32 v7, v7                                       // 0000000056E0: 7E0E4107
	v_add_f32_e64 v4, v4, 1.0                                  // 0000000056E4: D1010004 0001E504
	v_add_f32_e64 v5, v5, 1.0                                  // 0000000056EC: D1010005 0001E505
	v_add_f32_e64 v6, v6, 1.0                                  // 0000000056F4: D1010006 0001E506
	v_add_f32_e64 v7, v7, 1.0                                  // 0000000056FC: D1010007 0001E507
	v_rcp_f32_e32 v4, v4                                       // 000000005704: 7E084504
	v_rcp_f32_e32 v5, v5                                       // 000000005708: 7E0A4505
	v_rcp_f32_e32 v6, v6                                       // 00000000570C: 7E0C4506
	v_rcp_f32_e32 v7, v7                                       // 000000005710: 7E0E4507
	v_mul_f32_e32 v108, v108, v4                               // 000000005714: 0AD8096C
	v_mul_f32_e32 v109, v109, v5                               // 000000005718: 0ADA0B6D
	v_mul_f32_e32 v110, v110, v6                               // 00000000571C: 0ADC0D6E
	v_mul_f32_e32 v111, v111, v7                               // 000000005720: 0ADE0F6F
	v_mul_f32_e32 v108, v108, v172                             // 000000005724: 0AD9596C
	v_mul_f32_e32 v109, v109, v173                             // 000000005728: 0ADB5B6D
	v_mul_f32_e32 v110, v110, v174                             // 00000000572C: 0ADD5D6E
	v_mul_f32_e32 v111, v111, v175                             // 000000005730: 0ADF5F6F
	v_mul_f32_e64 v4, -v112, s6                                // 000000005734: D1050004 20000D70
	v_mul_f32_e64 v5, -v113, s6                                // 00000000573C: D1050005 20000D71
	v_mul_f32_e64 v6, -v114, s6                                // 000000005744: D1050006 20000D72
	v_mul_f32_e64 v7, -v115, s6                                // 00000000574C: D1050007 20000D73
	v_exp_f32_e32 v4, v4                                       // 000000005754: 7E084104
	v_exp_f32_e32 v5, v5                                       // 000000005758: 7E0A4105
	v_exp_f32_e32 v6, v6                                       // 00000000575C: 7E0C4106
	v_exp_f32_e32 v7, v7                                       // 000000005760: 7E0E4107
	v_add_f32_e64 v4, v4, 1.0                                  // 000000005764: D1010004 0001E504
	v_add_f32_e64 v5, v5, 1.0                                  // 00000000576C: D1010005 0001E505
	v_add_f32_e64 v6, v6, 1.0                                  // 000000005774: D1010006 0001E506
	v_add_f32_e64 v7, v7, 1.0                                  // 00000000577C: D1010007 0001E507
	v_rcp_f32_e32 v4, v4                                       // 000000005784: 7E084504
	v_rcp_f32_e32 v5, v5                                       // 000000005788: 7E0A4505
	v_rcp_f32_e32 v6, v6                                       // 00000000578C: 7E0C4506
	v_rcp_f32_e32 v7, v7                                       // 000000005790: 7E0E4507
	v_mul_f32_e32 v112, v112, v4                               // 000000005794: 0AE00970
	v_mul_f32_e32 v113, v113, v5                               // 000000005798: 0AE20B71
	v_mul_f32_e32 v114, v114, v6                               // 00000000579C: 0AE40D72
	v_mul_f32_e32 v115, v115, v7                               // 0000000057A0: 0AE60F73
	v_mul_f32_e32 v112, v112, v176                             // 0000000057A4: 0AE16170
	v_mul_f32_e32 v113, v113, v177                             // 0000000057A8: 0AE36371
	v_mul_f32_e32 v114, v114, v178                             // 0000000057AC: 0AE56572
	v_mul_f32_e32 v115, v115, v179                             // 0000000057B0: 0AE76773
	v_mul_f32_e64 v4, -v116, s6                                // 0000000057B4: D1050004 20000D74
	v_mul_f32_e64 v5, -v117, s6                                // 0000000057BC: D1050005 20000D75
	v_mul_f32_e64 v6, -v118, s6                                // 0000000057C4: D1050006 20000D76
	v_mul_f32_e64 v7, -v119, s6                                // 0000000057CC: D1050007 20000D77
	v_exp_f32_e32 v4, v4                                       // 0000000057D4: 7E084104
	v_exp_f32_e32 v5, v5                                       // 0000000057D8: 7E0A4105
	v_exp_f32_e32 v6, v6                                       // 0000000057DC: 7E0C4106
	v_exp_f32_e32 v7, v7                                       // 0000000057E0: 7E0E4107
	v_add_f32_e64 v4, v4, 1.0                                  // 0000000057E4: D1010004 0001E504
	v_add_f32_e64 v5, v5, 1.0                                  // 0000000057EC: D1010005 0001E505
	v_add_f32_e64 v6, v6, 1.0                                  // 0000000057F4: D1010006 0001E506
	v_add_f32_e64 v7, v7, 1.0                                  // 0000000057FC: D1010007 0001E507
	v_rcp_f32_e32 v4, v4                                       // 000000005804: 7E084504
	v_rcp_f32_e32 v5, v5                                       // 000000005808: 7E0A4505
	v_rcp_f32_e32 v6, v6                                       // 00000000580C: 7E0C4506
	v_rcp_f32_e32 v7, v7                                       // 000000005810: 7E0E4507
	v_mul_f32_e32 v116, v116, v4                               // 000000005814: 0AE80974
	v_mul_f32_e32 v117, v117, v5                               // 000000005818: 0AEA0B75
	v_mul_f32_e32 v118, v118, v6                               // 00000000581C: 0AEC0D76
	v_mul_f32_e32 v119, v119, v7                               // 000000005820: 0AEE0F77
	v_mul_f32_e32 v116, v116, v180                             // 000000005824: 0AE96974
	v_mul_f32_e32 v117, v117, v181                             // 000000005828: 0AEB6B75
	v_mul_f32_e32 v118, v118, v182                             // 00000000582C: 0AED6D76
	v_mul_f32_e32 v119, v119, v183                             // 000000005830: 0AEF6F77

0000000000005834 <label_0B8D>:
	v_cmp_u_f32_e64 s[46:47], v56, v56                         // 000000005834: D048002E 00027138
	v_add3_u32 v16, v56, v19, 1                                // 00000000583C: D1FF0010 02062738
	v_cndmask_b32_e64 v4, v16, v18, s[46:47]                   // 000000005844: D1000004 00BA2510
	v_cmp_u_f32_e64 s[46:47], v57, v57                         // 00000000584C: D048002E 00027339
	v_add3_u32 v16, v57, v19, 1                                // 000000005854: D1FF0010 02062739
	v_cndmask_b32_e64 v5, v16, v18, s[46:47]                   // 00000000585C: D1000005 00BA2510
	v_perm_b32 v56, v5, v4, s52                                // 000000005864: D1ED0038 00D20905
	v_cmp_u_f32_e64 s[46:47], v58, v58                         // 00000000586C: D048002E 0002753A
	v_add3_u32 v16, v58, v19, 1                                // 000000005874: D1FF0010 0206273A
	v_cndmask_b32_e64 v4, v16, v18, s[46:47]                   // 00000000587C: D1000004 00BA2510
	v_cmp_u_f32_e64 s[46:47], v59, v59                         // 000000005884: D048002E 0002773B
	v_add3_u32 v16, v59, v19, 1                                // 00000000588C: D1FF0010 0206273B
	v_cndmask_b32_e64 v5, v16, v18, s[46:47]                   // 000000005894: D1000005 00BA2510
	v_perm_b32 v57, v5, v4, s52                                // 00000000589C: D1ED0039 00D20905
	v_cmp_u_f32_e64 s[46:47], v60, v60                         // 0000000058A4: D048002E 0002793C
	v_add3_u32 v16, v60, v19, 1                                // 0000000058AC: D1FF0010 0206273C
	v_cndmask_b32_e64 v4, v16, v18, s[46:47]                   // 0000000058B4: D1000004 00BA2510
	v_cmp_u_f32_e64 s[46:47], v61, v61                         // 0000000058BC: D048002E 00027B3D
	v_add3_u32 v16, v61, v19, 1                                // 0000000058C4: D1FF0010 0206273D
	v_cndmask_b32_e64 v5, v16, v18, s[46:47]                   // 0000000058CC: D1000005 00BA2510
	v_perm_b32 v58, v5, v4, s52                                // 0000000058D4: D1ED003A 00D20905
	v_cmp_u_f32_e64 s[46:47], v62, v62                         // 0000000058DC: D048002E 00027D3E
	v_add3_u32 v16, v62, v19, 1                                // 0000000058E4: D1FF0010 0206273E
	v_cndmask_b32_e64 v4, v16, v18, s[46:47]                   // 0000000058EC: D1000004 00BA2510
	v_cmp_u_f32_e64 s[46:47], v63, v63                         // 0000000058F4: D048002E 00027F3F
	v_add3_u32 v16, v63, v19, 1                                // 0000000058FC: D1FF0010 0206273F
	v_cndmask_b32_e64 v5, v16, v18, s[46:47]                   // 000000005904: D1000005 00BA2510
	v_perm_b32 v59, v5, v4, s52                                // 00000000590C: D1ED003B 00D20905
	v_cmp_u_f32_e64 s[46:47], v64, v64                         // 000000005914: D048002E 00028140
	v_add3_u32 v16, v64, v19, 1                                // 00000000591C: D1FF0010 02062740
	v_cndmask_b32_e64 v4, v16, v18, s[46:47]                   // 000000005924: D1000004 00BA2510
	v_cmp_u_f32_e64 s[46:47], v65, v65                         // 00000000592C: D048002E 00028341
	v_add3_u32 v16, v65, v19, 1                                // 000000005934: D1FF0010 02062741
	v_cndmask_b32_e64 v5, v16, v18, s[46:47]                   // 00000000593C: D1000005 00BA2510
	v_perm_b32 v60, v5, v4, s52                                // 000000005944: D1ED003C 00D20905
	v_cmp_u_f32_e64 s[46:47], v66, v66                         // 00000000594C: D048002E 00028542
	v_add3_u32 v16, v66, v19, 1                                // 000000005954: D1FF0010 02062742
	v_cndmask_b32_e64 v4, v16, v18, s[46:47]                   // 00000000595C: D1000004 00BA2510
	v_cmp_u_f32_e64 s[46:47], v67, v67                         // 000000005964: D048002E 00028743
	v_add3_u32 v16, v67, v19, 1                                // 00000000596C: D1FF0010 02062743
	v_cndmask_b32_e64 v5, v16, v18, s[46:47]                   // 000000005974: D1000005 00BA2510
	v_perm_b32 v61, v5, v4, s52                                // 00000000597C: D1ED003D 00D20905
	v_cmp_u_f32_e64 s[46:47], v68, v68                         // 000000005984: D048002E 00028944
	v_add3_u32 v16, v68, v19, 1                                // 00000000598C: D1FF0010 02062744
	v_cndmask_b32_e64 v4, v16, v18, s[46:47]                   // 000000005994: D1000004 00BA2510
	v_cmp_u_f32_e64 s[46:47], v69, v69                         // 00000000599C: D048002E 00028B45
	v_add3_u32 v16, v69, v19, 1                                // 0000000059A4: D1FF0010 02062745
	v_cndmask_b32_e64 v5, v16, v18, s[46:47]                   // 0000000059AC: D1000005 00BA2510
	v_perm_b32 v62, v5, v4, s52                                // 0000000059B4: D1ED003E 00D20905
	v_cmp_u_f32_e64 s[46:47], v70, v70                         // 0000000059BC: D048002E 00028D46
	v_add3_u32 v16, v70, v19, 1                                // 0000000059C4: D1FF0010 02062746
	v_cndmask_b32_e64 v4, v16, v18, s[46:47]                   // 0000000059CC: D1000004 00BA2510
	v_cmp_u_f32_e64 s[46:47], v71, v71                         // 0000000059D4: D048002E 00028F47
	v_add3_u32 v16, v71, v19, 1                                // 0000000059DC: D1FF0010 02062747
	v_cndmask_b32_e64 v5, v16, v18, s[46:47]                   // 0000000059E4: D1000005 00BA2510
	v_perm_b32 v63, v5, v4, s52                                // 0000000059EC: D1ED003F 00D20905
	v_cmp_u_f32_e64 s[46:47], v72, v72                         // 0000000059F4: D048002E 00029148
	v_add3_u32 v16, v72, v19, 1                                // 0000000059FC: D1FF0010 02062748
	v_cndmask_b32_e64 v4, v16, v18, s[46:47]                   // 000000005A04: D1000004 00BA2510
	v_cmp_u_f32_e64 s[46:47], v73, v73                         // 000000005A0C: D048002E 00029349
	v_add3_u32 v16, v73, v19, 1                                // 000000005A14: D1FF0010 02062749
	v_cndmask_b32_e64 v5, v16, v18, s[46:47]                   // 000000005A1C: D1000005 00BA2510
	v_perm_b32 v64, v5, v4, s52                                // 000000005A24: D1ED0040 00D20905
	v_cmp_u_f32_e64 s[46:47], v74, v74                         // 000000005A2C: D048002E 0002954A
	v_add3_u32 v16, v74, v19, 1                                // 000000005A34: D1FF0010 0206274A
	v_cndmask_b32_e64 v4, v16, v18, s[46:47]                   // 000000005A3C: D1000004 00BA2510
	v_cmp_u_f32_e64 s[46:47], v75, v75                         // 000000005A44: D048002E 0002974B
	v_add3_u32 v16, v75, v19, 1                                // 000000005A4C: D1FF0010 0206274B
	v_cndmask_b32_e64 v5, v16, v18, s[46:47]                   // 000000005A54: D1000005 00BA2510
	v_perm_b32 v65, v5, v4, s52                                // 000000005A5C: D1ED0041 00D20905
	v_cmp_u_f32_e64 s[46:47], v76, v76                         // 000000005A64: D048002E 0002994C
	v_add3_u32 v16, v76, v19, 1                                // 000000005A6C: D1FF0010 0206274C
	v_cndmask_b32_e64 v4, v16, v18, s[46:47]                   // 000000005A74: D1000004 00BA2510
	v_cmp_u_f32_e64 s[46:47], v77, v77                         // 000000005A7C: D048002E 00029B4D
	v_add3_u32 v16, v77, v19, 1                                // 000000005A84: D1FF0010 0206274D
	v_cndmask_b32_e64 v5, v16, v18, s[46:47]                   // 000000005A8C: D1000005 00BA2510
	v_perm_b32 v66, v5, v4, s52                                // 000000005A94: D1ED0042 00D20905
	v_cmp_u_f32_e64 s[46:47], v78, v78                         // 000000005A9C: D048002E 00029D4E
	v_add3_u32 v16, v78, v19, 1                                // 000000005AA4: D1FF0010 0206274E
	v_cndmask_b32_e64 v4, v16, v18, s[46:47]                   // 000000005AAC: D1000004 00BA2510
	v_cmp_u_f32_e64 s[46:47], v79, v79                         // 000000005AB4: D048002E 00029F4F
	v_add3_u32 v16, v79, v19, 1                                // 000000005ABC: D1FF0010 0206274F
	v_cndmask_b32_e64 v5, v16, v18, s[46:47]                   // 000000005AC4: D1000005 00BA2510
	v_perm_b32 v67, v5, v4, s52                                // 000000005ACC: D1ED0043 00D20905
	v_cmp_u_f32_e64 s[46:47], v80, v80                         // 000000005AD4: D048002E 0002A150
	v_add3_u32 v16, v80, v19, 1                                // 000000005ADC: D1FF0010 02062750
	v_cndmask_b32_e64 v4, v16, v18, s[46:47]                   // 000000005AE4: D1000004 00BA2510
	v_cmp_u_f32_e64 s[46:47], v81, v81                         // 000000005AEC: D048002E 0002A351
	v_add3_u32 v16, v81, v19, 1                                // 000000005AF4: D1FF0010 02062751
	v_cndmask_b32_e64 v5, v16, v18, s[46:47]                   // 000000005AFC: D1000005 00BA2510
	v_perm_b32 v68, v5, v4, s52                                // 000000005B04: D1ED0044 00D20905
	v_cmp_u_f32_e64 s[46:47], v82, v82                         // 000000005B0C: D048002E 0002A552
	v_add3_u32 v16, v82, v19, 1                                // 000000005B14: D1FF0010 02062752
	v_cndmask_b32_e64 v4, v16, v18, s[46:47]                   // 000000005B1C: D1000004 00BA2510
	v_cmp_u_f32_e64 s[46:47], v83, v83                         // 000000005B24: D048002E 0002A753
	v_add3_u32 v16, v83, v19, 1                                // 000000005B2C: D1FF0010 02062753
	v_cndmask_b32_e64 v5, v16, v18, s[46:47]                   // 000000005B34: D1000005 00BA2510
	v_perm_b32 v69, v5, v4, s52                                // 000000005B3C: D1ED0045 00D20905
	v_cmp_u_f32_e64 s[46:47], v84, v84                         // 000000005B44: D048002E 0002A954
	v_add3_u32 v16, v84, v19, 1                                // 000000005B4C: D1FF0010 02062754
	v_cndmask_b32_e64 v4, v16, v18, s[46:47]                   // 000000005B54: D1000004 00BA2510
	v_cmp_u_f32_e64 s[46:47], v85, v85                         // 000000005B5C: D048002E 0002AB55
	v_add3_u32 v16, v85, v19, 1                                // 000000005B64: D1FF0010 02062755
	v_cndmask_b32_e64 v5, v16, v18, s[46:47]                   // 000000005B6C: D1000005 00BA2510
	v_perm_b32 v70, v5, v4, s52                                // 000000005B74: D1ED0046 00D20905
	v_cmp_u_f32_e64 s[46:47], v86, v86                         // 000000005B7C: D048002E 0002AD56
	v_add3_u32 v16, v86, v19, 1                                // 000000005B84: D1FF0010 02062756
	v_cndmask_b32_e64 v4, v16, v18, s[46:47]                   // 000000005B8C: D1000004 00BA2510
	v_cmp_u_f32_e64 s[46:47], v87, v87                         // 000000005B94: D048002E 0002AF57
	v_add3_u32 v16, v87, v19, 1                                // 000000005B9C: D1FF0010 02062757
	v_cndmask_b32_e64 v5, v16, v18, s[46:47]                   // 000000005BA4: D1000005 00BA2510
	v_perm_b32 v71, v5, v4, s52                                // 000000005BAC: D1ED0047 00D20905
	v_cmp_u_f32_e64 s[46:47], v88, v88                         // 000000005BB4: D048002E 0002B158
	v_add3_u32 v16, v88, v19, 1                                // 000000005BBC: D1FF0010 02062758
	v_cndmask_b32_e64 v4, v16, v18, s[46:47]                   // 000000005BC4: D1000004 00BA2510
	v_cmp_u_f32_e64 s[46:47], v89, v89                         // 000000005BCC: D048002E 0002B359
	v_add3_u32 v16, v89, v19, 1                                // 000000005BD4: D1FF0010 02062759
	v_cndmask_b32_e64 v5, v16, v18, s[46:47]                   // 000000005BDC: D1000005 00BA2510
	v_perm_b32 v72, v5, v4, s52                                // 000000005BE4: D1ED0048 00D20905
	v_cmp_u_f32_e64 s[46:47], v90, v90                         // 000000005BEC: D048002E 0002B55A
	v_add3_u32 v16, v90, v19, 1                                // 000000005BF4: D1FF0010 0206275A
	v_cndmask_b32_e64 v4, v16, v18, s[46:47]                   // 000000005BFC: D1000004 00BA2510
	v_cmp_u_f32_e64 s[46:47], v91, v91                         // 000000005C04: D048002E 0002B75B
	v_add3_u32 v16, v91, v19, 1                                // 000000005C0C: D1FF0010 0206275B
	v_cndmask_b32_e64 v5, v16, v18, s[46:47]                   // 000000005C14: D1000005 00BA2510
	v_perm_b32 v73, v5, v4, s52                                // 000000005C1C: D1ED0049 00D20905
	v_cmp_u_f32_e64 s[46:47], v92, v92                         // 000000005C24: D048002E 0002B95C
	v_add3_u32 v16, v92, v19, 1                                // 000000005C2C: D1FF0010 0206275C
	v_cndmask_b32_e64 v4, v16, v18, s[46:47]                   // 000000005C34: D1000004 00BA2510
	v_cmp_u_f32_e64 s[46:47], v93, v93                         // 000000005C3C: D048002E 0002BB5D
	v_add3_u32 v16, v93, v19, 1                                // 000000005C44: D1FF0010 0206275D
	v_cndmask_b32_e64 v5, v16, v18, s[46:47]                   // 000000005C4C: D1000005 00BA2510
	v_perm_b32 v74, v5, v4, s52                                // 000000005C54: D1ED004A 00D20905
	v_cmp_u_f32_e64 s[46:47], v94, v94                         // 000000005C5C: D048002E 0002BD5E
	v_add3_u32 v16, v94, v19, 1                                // 000000005C64: D1FF0010 0206275E
	v_cndmask_b32_e64 v4, v16, v18, s[46:47]                   // 000000005C6C: D1000004 00BA2510
	v_cmp_u_f32_e64 s[46:47], v95, v95                         // 000000005C74: D048002E 0002BF5F
	v_add3_u32 v16, v95, v19, 1                                // 000000005C7C: D1FF0010 0206275F
	v_cndmask_b32_e64 v5, v16, v18, s[46:47]                   // 000000005C84: D1000005 00BA2510
	v_perm_b32 v75, v5, v4, s52                                // 000000005C8C: D1ED004B 00D20905
	v_cmp_u_f32_e64 s[46:47], v96, v96                         // 000000005C94: D048002E 0002C160
	v_add3_u32 v16, v96, v19, 1                                // 000000005C9C: D1FF0010 02062760
	v_cndmask_b32_e64 v4, v16, v18, s[46:47]                   // 000000005CA4: D1000004 00BA2510
	v_cmp_u_f32_e64 s[46:47], v97, v97                         // 000000005CAC: D048002E 0002C361
	v_add3_u32 v16, v97, v19, 1                                // 000000005CB4: D1FF0010 02062761
	v_cndmask_b32_e64 v5, v16, v18, s[46:47]                   // 000000005CBC: D1000005 00BA2510
	v_perm_b32 v76, v5, v4, s52                                // 000000005CC4: D1ED004C 00D20905
	v_cmp_u_f32_e64 s[46:47], v98, v98                         // 000000005CCC: D048002E 0002C562
	v_add3_u32 v16, v98, v19, 1                                // 000000005CD4: D1FF0010 02062762
	v_cndmask_b32_e64 v4, v16, v18, s[46:47]                   // 000000005CDC: D1000004 00BA2510
	v_cmp_u_f32_e64 s[46:47], v99, v99                         // 000000005CE4: D048002E 0002C763
	v_add3_u32 v16, v99, v19, 1                                // 000000005CEC: D1FF0010 02062763
	v_cndmask_b32_e64 v5, v16, v18, s[46:47]                   // 000000005CF4: D1000005 00BA2510
	v_perm_b32 v77, v5, v4, s52                                // 000000005CFC: D1ED004D 00D20905
	v_cmp_u_f32_e64 s[46:47], v100, v100                       // 000000005D04: D048002E 0002C964
	v_add3_u32 v16, v100, v19, 1                               // 000000005D0C: D1FF0010 02062764
	v_cndmask_b32_e64 v4, v16, v18, s[46:47]                   // 000000005D14: D1000004 00BA2510
	v_cmp_u_f32_e64 s[46:47], v101, v101                       // 000000005D1C: D048002E 0002CB65
	v_add3_u32 v16, v101, v19, 1                               // 000000005D24: D1FF0010 02062765
	v_cndmask_b32_e64 v5, v16, v18, s[46:47]                   // 000000005D2C: D1000005 00BA2510
	v_perm_b32 v78, v5, v4, s52                                // 000000005D34: D1ED004E 00D20905
	v_cmp_u_f32_e64 s[46:47], v102, v102                       // 000000005D3C: D048002E 0002CD66
	v_add3_u32 v16, v102, v19, 1                               // 000000005D44: D1FF0010 02062766
	v_cndmask_b32_e64 v4, v16, v18, s[46:47]                   // 000000005D4C: D1000004 00BA2510
	v_cmp_u_f32_e64 s[46:47], v103, v103                       // 000000005D54: D048002E 0002CF67
	v_add3_u32 v16, v103, v19, 1                               // 000000005D5C: D1FF0010 02062767
	v_cndmask_b32_e64 v5, v16, v18, s[46:47]                   // 000000005D64: D1000005 00BA2510
	v_perm_b32 v79, v5, v4, s52                                // 000000005D6C: D1ED004F 00D20905
	v_cmp_u_f32_e64 s[46:47], v104, v104                       // 000000005D74: D048002E 0002D168
	v_add3_u32 v16, v104, v19, 1                               // 000000005D7C: D1FF0010 02062768
	v_cndmask_b32_e64 v4, v16, v18, s[46:47]                   // 000000005D84: D1000004 00BA2510
	v_cmp_u_f32_e64 s[46:47], v105, v105                       // 000000005D8C: D048002E 0002D369
	v_add3_u32 v16, v105, v19, 1                               // 000000005D94: D1FF0010 02062769
	v_cndmask_b32_e64 v5, v16, v18, s[46:47]                   // 000000005D9C: D1000005 00BA2510
	v_perm_b32 v80, v5, v4, s52                                // 000000005DA4: D1ED0050 00D20905
	v_cmp_u_f32_e64 s[46:47], v106, v106                       // 000000005DAC: D048002E 0002D56A
	v_add3_u32 v16, v106, v19, 1                               // 000000005DB4: D1FF0010 0206276A
	v_cndmask_b32_e64 v4, v16, v18, s[46:47]                   // 000000005DBC: D1000004 00BA2510
	v_cmp_u_f32_e64 s[46:47], v107, v107                       // 000000005DC4: D048002E 0002D76B
	v_add3_u32 v16, v107, v19, 1                               // 000000005DCC: D1FF0010 0206276B
	v_cndmask_b32_e64 v5, v16, v18, s[46:47]                   // 000000005DD4: D1000005 00BA2510
	v_perm_b32 v81, v5, v4, s52                                // 000000005DDC: D1ED0051 00D20905
	v_cmp_u_f32_e64 s[46:47], v108, v108                       // 000000005DE4: D048002E 0002D96C
	v_add3_u32 v16, v108, v19, 1                               // 000000005DEC: D1FF0010 0206276C
	v_cndmask_b32_e64 v4, v16, v18, s[46:47]                   // 000000005DF4: D1000004 00BA2510
	v_cmp_u_f32_e64 s[46:47], v109, v109                       // 000000005DFC: D048002E 0002DB6D
	v_add3_u32 v16, v109, v19, 1                               // 000000005E04: D1FF0010 0206276D
	v_cndmask_b32_e64 v5, v16, v18, s[46:47]                   // 000000005E0C: D1000005 00BA2510
	v_perm_b32 v82, v5, v4, s52                                // 000000005E14: D1ED0052 00D20905
	v_cmp_u_f32_e64 s[46:47], v110, v110                       // 000000005E1C: D048002E 0002DD6E
	v_add3_u32 v16, v110, v19, 1                               // 000000005E24: D1FF0010 0206276E
	v_cndmask_b32_e64 v4, v16, v18, s[46:47]                   // 000000005E2C: D1000004 00BA2510
	v_cmp_u_f32_e64 s[46:47], v111, v111                       // 000000005E34: D048002E 0002DF6F
	v_add3_u32 v16, v111, v19, 1                               // 000000005E3C: D1FF0010 0206276F
	v_cndmask_b32_e64 v5, v16, v18, s[46:47]                   // 000000005E44: D1000005 00BA2510
	v_perm_b32 v83, v5, v4, s52                                // 000000005E4C: D1ED0053 00D20905
	v_cmp_u_f32_e64 s[46:47], v112, v112                       // 000000005E54: D048002E 0002E170
	v_add3_u32 v16, v112, v19, 1                               // 000000005E5C: D1FF0010 02062770
	v_cndmask_b32_e64 v4, v16, v18, s[46:47]                   // 000000005E64: D1000004 00BA2510
	v_cmp_u_f32_e64 s[46:47], v113, v113                       // 000000005E6C: D048002E 0002E371
	v_add3_u32 v16, v113, v19, 1                               // 000000005E74: D1FF0010 02062771
	v_cndmask_b32_e64 v5, v16, v18, s[46:47]                   // 000000005E7C: D1000005 00BA2510
	v_perm_b32 v84, v5, v4, s52                                // 000000005E84: D1ED0054 00D20905
	v_cmp_u_f32_e64 s[46:47], v114, v114                       // 000000005E8C: D048002E 0002E572
	v_add3_u32 v16, v114, v19, 1                               // 000000005E94: D1FF0010 02062772
	v_cndmask_b32_e64 v4, v16, v18, s[46:47]                   // 000000005E9C: D1000004 00BA2510
	v_cmp_u_f32_e64 s[46:47], v115, v115                       // 000000005EA4: D048002E 0002E773
	v_add3_u32 v16, v115, v19, 1                               // 000000005EAC: D1FF0010 02062773
	v_cndmask_b32_e64 v5, v16, v18, s[46:47]                   // 000000005EB4: D1000005 00BA2510
	v_perm_b32 v85, v5, v4, s52                                // 000000005EBC: D1ED0055 00D20905
	v_cmp_u_f32_e64 s[46:47], v116, v116                       // 000000005EC4: D048002E 0002E974
	v_add3_u32 v16, v116, v19, 1                               // 000000005ECC: D1FF0010 02062774
	v_cndmask_b32_e64 v4, v16, v18, s[46:47]                   // 000000005ED4: D1000004 00BA2510
	v_cmp_u_f32_e64 s[46:47], v117, v117                       // 000000005EDC: D048002E 0002EB75
	v_add3_u32 v16, v117, v19, 1                               // 000000005EE4: D1FF0010 02062775
	v_cndmask_b32_e64 v5, v16, v18, s[46:47]                   // 000000005EEC: D1000005 00BA2510
	v_perm_b32 v86, v5, v4, s52                                // 000000005EF4: D1ED0056 00D20905
	v_cmp_u_f32_e64 s[46:47], v118, v118                       // 000000005EFC: D048002E 0002ED76
	v_add3_u32 v16, v118, v19, 1                               // 000000005F04: D1FF0010 02062776
	v_cndmask_b32_e64 v4, v16, v18, s[46:47]                   // 000000005F0C: D1000004 00BA2510
	v_cmp_u_f32_e64 s[46:47], v119, v119                       // 000000005F14: D048002E 0002EF77
	v_add3_u32 v16, v119, v19, 1                               // 000000005F1C: D1FF0010 02062777
	v_cndmask_b32_e64 v5, v16, v18, s[46:47]                   // 000000005F24: D1000005 00BA2510
	v_perm_b32 v87, v5, v4, s52                                // 000000005F2C: D1ED0057 00D20905
	ds_write_b64 v20, v[56:57]                                 // 000000005F34: D89A0000 00003814
	ds_write_b64 v20, v[58:59] offset:8704                     // 000000005F3C: D89A2200 00003A14
	ds_write_b64 v20, v[60:61] offset:17408                    // 000000005F44: D89A4400 00003C14
	ds_write_b64 v20, v[62:63] offset:26112                    // 000000005F4C: D89A6600 00003E14
	ds_write_b64 v20, v[64:65] offset:2176                     // 000000005F54: D89A0880 00004014
	ds_write_b64 v20, v[66:67] offset:10880                    // 000000005F5C: D89A2A80 00004214
	ds_write_b64 v20, v[68:69] offset:19584                    // 000000005F64: D89A4C80 00004414
	ds_write_b64 v20, v[70:71] offset:28288                    // 000000005F6C: D89A6E80 00004614
	ds_write_b64 v20, v[72:73] offset:4352                     // 000000005F74: D89A1100 00004814
	ds_write_b64 v20, v[74:75] offset:13056                    // 000000005F7C: D89A3300 00004A14
	ds_write_b64 v20, v[76:77] offset:21760                    // 000000005F84: D89A5500 00004C14
	ds_write_b64 v20, v[78:79] offset:30464                    // 000000005F8C: D89A7700 00004E14
	ds_write_b64 v20, v[80:81] offset:6528                     // 000000005F94: D89A1980 00005014
	ds_write_b64 v20, v[82:83] offset:15232                    // 000000005F9C: D89A3B80 00005214
	ds_write_b64 v20, v[84:85] offset:23936                    // 000000005FA4: D89A5D80 00005414
	ds_write_b64 v20, v[86:87] offset:32640                    // 000000005FAC: D89A7F80 00005614
	v_lshrrev_b32_e32 v4, 5, v0                                // 000000005FB4: 20080085
	v_xor_b32_e32 v5, 1, v4                                    // 000000005FB8: 2A0A0881
	s_mul_i32 s60, s65, 2                                      // 000000005FBC: 923C8241
	s_cmp_eq_u32 s88, 0                                        // 000000005FC0: BF068058
	s_cselect_b32 s61, 1, 4                                    // 000000005FC4: 853D8481
	s_mul_i32 s60, s61, s60                                    // 000000005FC8: 923C3C3D
	v_readlane_b32 s82, v3, 0                                  // 000000005FCC: D2890052 00010103
	s_lshr_b32 s61, s82, 24                                    // 000000005FD4: 8F3D9852
	s_and_b32 s82, s82, 0xffffff                               // 000000005FD8: 8652FF52 00FFFFFF
	s_mul_i32 s82, s82, s71                                    // 000000005FE0: 92524752
	s_mul_i32 s61, s60, s61                                    // 000000005FE4: 923D3D3C
	s_add_u32 s82, s82, s61                                    // 000000005FE8: 80523D52
	v_mul_lo_u32 v6, v5, s82                                   // 000000005FEC: D2850006 0000A505
	v_readlane_b32 s82, v3, 1                                  // 000000005FF4: D2890052 00010303
	s_lshr_b32 s61, s82, 24                                    // 000000005FFC: 8F3D9852
	s_and_b32 s82, s82, 0xffffff                               // 000000006000: 8652FF52 00FFFFFF
	s_mul_i32 s82, s82, s71                                    // 000000006008: 92524752
	s_mul_i32 s61, s60, s61                                    // 00000000600C: 923D3D3C
	s_add_u32 s82, s82, s61                                    // 000000006010: 80523D52
	v_mul_lo_u32 v7, v4, s82                                   // 000000006014: D2850007 0000A504
	v_add_u32_e32 v44, v6, v7                                  // 00000000601C: 68580F06
	v_readlane_b32 s82, v3, 2                                  // 000000006020: D2890052 00010503
	s_lshr_b32 s61, s82, 24                                    // 000000006028: 8F3D9852
	s_and_b32 s82, s82, 0xffffff                               // 00000000602C: 8652FF52 00FFFFFF
	s_mul_i32 s82, s82, s71                                    // 000000006034: 92524752
	s_mul_i32 s61, s60, s61                                    // 000000006038: 923D3D3C
	s_add_u32 s82, s82, s61                                    // 00000000603C: 80523D52
	v_mul_lo_u32 v6, v5, s82                                   // 000000006040: D2850006 0000A505
	v_readlane_b32 s82, v3, 3                                  // 000000006048: D2890052 00010703
	s_lshr_b32 s61, s82, 24                                    // 000000006050: 8F3D9852
	s_and_b32 s82, s82, 0xffffff                               // 000000006054: 8652FF52 00FFFFFF
	s_mul_i32 s82, s82, s71                                    // 00000000605C: 92524752
	s_mul_i32 s61, s60, s61                                    // 000000006060: 923D3D3C
	s_add_u32 s82, s82, s61                                    // 000000006064: 80523D52
	v_mul_lo_u32 v7, v4, s82                                   // 000000006068: D2850007 0000A504
	v_add_u32_e32 v45, v6, v7                                  // 000000006070: 685A0F06
	v_readlane_b32 s82, v3, 4                                  // 000000006074: D2890052 00010903
	s_lshr_b32 s61, s82, 24                                    // 00000000607C: 8F3D9852
	s_and_b32 s82, s82, 0xffffff                               // 000000006080: 8652FF52 00FFFFFF
	s_mul_i32 s82, s82, s71                                    // 000000006088: 92524752
	s_mul_i32 s61, s60, s61                                    // 00000000608C: 923D3D3C
	s_add_u32 s82, s82, s61                                    // 000000006090: 80523D52
	v_mul_lo_u32 v6, v5, s82                                   // 000000006094: D2850006 0000A505
	v_readlane_b32 s82, v3, 5                                  // 00000000609C: D2890052 00010B03
	s_lshr_b32 s61, s82, 24                                    // 0000000060A4: 8F3D9852
	s_and_b32 s82, s82, 0xffffff                               // 0000000060A8: 8652FF52 00FFFFFF
	s_mul_i32 s82, s82, s71                                    // 0000000060B0: 92524752
	s_mul_i32 s61, s60, s61                                    // 0000000060B4: 923D3D3C
	s_add_u32 s82, s82, s61                                    // 0000000060B8: 80523D52
	v_mul_lo_u32 v7, v4, s82                                   // 0000000060BC: D2850007 0000A504
	v_add_u32_e32 v46, v6, v7                                  // 0000000060C4: 685C0F06
	v_readlane_b32 s82, v3, 6                                  // 0000000060C8: D2890052 00010D03
	s_lshr_b32 s61, s82, 24                                    // 0000000060D0: 8F3D9852
	s_and_b32 s82, s82, 0xffffff                               // 0000000060D4: 8652FF52 00FFFFFF
	s_mul_i32 s82, s82, s71                                    // 0000000060DC: 92524752
	s_mul_i32 s61, s60, s61                                    // 0000000060E0: 923D3D3C
	s_add_u32 s82, s82, s61                                    // 0000000060E4: 80523D52
	v_mul_lo_u32 v6, v5, s82                                   // 0000000060E8: D2850006 0000A505
	v_readlane_b32 s82, v3, 7                                  // 0000000060F0: D2890052 00010F03
	s_lshr_b32 s61, s82, 24                                    // 0000000060F8: 8F3D9852
	s_and_b32 s82, s82, 0xffffff                               // 0000000060FC: 8652FF52 00FFFFFF
	s_mul_i32 s82, s82, s71                                    // 000000006104: 92524752
	s_mul_i32 s61, s60, s61                                    // 000000006108: 923D3D3C
	s_add_u32 s82, s82, s61                                    // 00000000610C: 80523D52
	v_mul_lo_u32 v7, v4, s82                                   // 000000006110: D2850007 0000A504
	v_add_u32_e32 v47, v6, v7                                  // 000000006118: 685E0F06
	v_readlane_b32 s82, v3, 8                                  // 00000000611C: D2890052 00011103
	s_lshr_b32 s61, s82, 24                                    // 000000006124: 8F3D9852
	s_and_b32 s82, s82, 0xffffff                               // 000000006128: 8652FF52 00FFFFFF
	s_mul_i32 s82, s82, s71                                    // 000000006130: 92524752
	s_mul_i32 s61, s60, s61                                    // 000000006134: 923D3D3C
	s_add_u32 s82, s82, s61                                    // 000000006138: 80523D52
	v_mul_lo_u32 v6, v5, s82                                   // 00000000613C: D2850006 0000A505
	v_readlane_b32 s82, v3, 9                                  // 000000006144: D2890052 00011303
	s_lshr_b32 s61, s82, 24                                    // 00000000614C: 8F3D9852
	s_and_b32 s82, s82, 0xffffff                               // 000000006150: 8652FF52 00FFFFFF
	s_mul_i32 s82, s82, s71                                    // 000000006158: 92524752
	s_mul_i32 s61, s60, s61                                    // 00000000615C: 923D3D3C
	s_add_u32 s82, s82, s61                                    // 000000006160: 80523D52
	v_mul_lo_u32 v7, v4, s82                                   // 000000006164: D2850007 0000A504
	v_add_u32_e32 v48, v6, v7                                  // 00000000616C: 68600F06
	v_readlane_b32 s82, v3, 10                                 // 000000006170: D2890052 00011503
	s_lshr_b32 s61, s82, 24                                    // 000000006178: 8F3D9852
	s_and_b32 s82, s82, 0xffffff                               // 00000000617C: 8652FF52 00FFFFFF
	s_mul_i32 s82, s82, s71                                    // 000000006184: 92524752
	s_mul_i32 s61, s60, s61                                    // 000000006188: 923D3D3C
	s_add_u32 s82, s82, s61                                    // 00000000618C: 80523D52
	v_mul_lo_u32 v6, v5, s82                                   // 000000006190: D2850006 0000A505
	v_readlane_b32 s82, v3, 11                                 // 000000006198: D2890052 00011703
	s_lshr_b32 s61, s82, 24                                    // 0000000061A0: 8F3D9852
	s_and_b32 s82, s82, 0xffffff                               // 0000000061A4: 8652FF52 00FFFFFF
	s_mul_i32 s82, s82, s71                                    // 0000000061AC: 92524752
	s_mul_i32 s61, s60, s61                                    // 0000000061B0: 923D3D3C
	s_add_u32 s82, s82, s61                                    // 0000000061B4: 80523D52
	v_mul_lo_u32 v7, v4, s82                                   // 0000000061B8: D2850007 0000A504
	v_add_u32_e32 v49, v6, v7                                  // 0000000061C0: 68620F06
	v_readlane_b32 s82, v3, 12                                 // 0000000061C4: D2890052 00011903
	s_lshr_b32 s61, s82, 24                                    // 0000000061CC: 8F3D9852
	s_and_b32 s82, s82, 0xffffff                               // 0000000061D0: 8652FF52 00FFFFFF
	s_mul_i32 s82, s82, s71                                    // 0000000061D8: 92524752
	s_mul_i32 s61, s60, s61                                    // 0000000061DC: 923D3D3C
	s_add_u32 s82, s82, s61                                    // 0000000061E0: 80523D52
	v_mul_lo_u32 v6, v5, s82                                   // 0000000061E4: D2850006 0000A505
	v_readlane_b32 s82, v3, 13                                 // 0000000061EC: D2890052 00011B03
	s_lshr_b32 s61, s82, 24                                    // 0000000061F4: 8F3D9852
	s_and_b32 s82, s82, 0xffffff                               // 0000000061F8: 8652FF52 00FFFFFF
	s_mul_i32 s82, s82, s71                                    // 000000006200: 92524752
	s_mul_i32 s61, s60, s61                                    // 000000006204: 923D3D3C
	s_add_u32 s82, s82, s61                                    // 000000006208: 80523D52
	v_mul_lo_u32 v7, v4, s82                                   // 00000000620C: D2850007 0000A504
	v_add_u32_e32 v50, v6, v7                                  // 000000006214: 68640F06
	v_readlane_b32 s82, v3, 14                                 // 000000006218: D2890052 00011D03
	s_lshr_b32 s61, s82, 24                                    // 000000006220: 8F3D9852
	s_and_b32 s82, s82, 0xffffff                               // 000000006224: 8652FF52 00FFFFFF
	s_mul_i32 s82, s82, s71                                    // 00000000622C: 92524752
	s_mul_i32 s61, s60, s61                                    // 000000006230: 923D3D3C
	s_add_u32 s82, s82, s61                                    // 000000006234: 80523D52
	v_mul_lo_u32 v6, v5, s82                                   // 000000006238: D2850006 0000A505
	v_readlane_b32 s82, v3, 15                                 // 000000006240: D2890052 00011F03
	s_lshr_b32 s61, s82, 24                                    // 000000006248: 8F3D9852
	s_and_b32 s82, s82, 0xffffff                               // 00000000624C: 8652FF52 00FFFFFF
	s_mul_i32 s82, s82, s71                                    // 000000006254: 92524752
	s_mul_i32 s61, s60, s61                                    // 000000006258: 923D3D3C
	s_add_u32 s82, s82, s61                                    // 00000000625C: 80523D52
	v_mul_lo_u32 v7, v4, s82                                   // 000000006260: D2850007 0000A504
	v_add_u32_e32 v51, v6, v7                                  // 000000006268: 68660F06
	v_and_b32_e32 v4, 31, v0                                   // 00000000626C: 2608009F
	v_lshrrev_b32_e32 v4, 1, v4                                // 000000006270: 20080881
	s_cmp_eq_u32 s88, 0                                        // 000000006274: BF068058
	s_cselect_b32 s61, 2, 4                                    // 000000006278: 853D8482
	v_mul_lo_u32 v4, v4, s61                                   // 00000000627C: D2850004 00007B04
	v_and_b32_e64 v5, v0, 1                                    // 000000006284: D1130005 00010300
	v_add_u32_e32 v4, v4, v5                                   // 00000000628C: 68080B04
	v_lshlrev_b32_e32 v4, 2, v4                                // 000000006290: 24080882
	v_add_u32_e32 v44, v44, v4                                 // 000000006294: 6858092C
	v_add_u32_e32 v45, v45, v4                                 // 000000006298: 685A092D
	v_add_u32_e32 v46, v46, v4                                 // 00000000629C: 685C092E
	v_add_u32_e32 v47, v47, v4                                 // 0000000062A0: 685E092F
	v_add_u32_e32 v48, v48, v4                                 // 0000000062A4: 68600930
	v_add_u32_e32 v49, v49, v4                                 // 0000000062A8: 68620931
	v_add_u32_e32 v50, v50, v4                                 // 0000000062AC: 68640932
	v_add_u32_e32 v51, v51, v4                                 // 0000000062B0: 68660933
	s_waitcnt lgkmcnt(0)                                       // 0000000062B4: BF8CC07F
	s_barrier                                                  // 0000000062B8: BF8A0000
	ds_read_b32 v56, v21                                       // 0000000062BC: D86C0000 38000015
	ds_read_b32 v57, v21 offset:64                             // 0000000062C4: D86C0040 39000015
	ds_read_b32 v58, v21 offset:2176                           // 0000000062CC: D86C0880 3A000015
	ds_read_b32 v59, v21 offset:2240                           // 0000000062D4: D86C08C0 3B000015
	ds_read_b32 v60, v21 offset:4352                           // 0000000062DC: D86C1100 3C000015
	ds_read_b32 v61, v21 offset:4416                           // 0000000062E4: D86C1140 3D000015
	ds_read_b32 v62, v21 offset:6528                           // 0000000062EC: D86C1980 3E000015
	ds_read_b32 v63, v21 offset:6592                           // 0000000062F4: D86C19C0 3F000015
	ds_read_b32 v64, v21 offset:8704                           // 0000000062FC: D86C2200 40000015
	ds_read_b32 v65, v21 offset:8768                           // 000000006304: D86C2240 41000015
	ds_read_b32 v66, v21 offset:10880                          // 00000000630C: D86C2A80 42000015
	ds_read_b32 v67, v21 offset:10944                          // 000000006314: D86C2AC0 43000015
	ds_read_b32 v68, v21 offset:13056                          // 00000000631C: D86C3300 44000015
	ds_read_b32 v69, v21 offset:13120                          // 000000006324: D86C3340 45000015
	ds_read_b32 v70, v21 offset:15232                          // 00000000632C: D86C3B80 46000015
	ds_read_b32 v71, v21 offset:15296                          // 000000006334: D86C3BC0 47000015
	ds_read_b32 v72, v21 offset:17408                          // 00000000633C: D86C4400 48000015
	ds_read_b32 v73, v21 offset:17472                          // 000000006344: D86C4440 49000015
	ds_read_b32 v74, v21 offset:19584                          // 00000000634C: D86C4C80 4A000015
	ds_read_b32 v75, v21 offset:19648                          // 000000006354: D86C4CC0 4B000015
	ds_read_b32 v76, v21 offset:21760                          // 00000000635C: D86C5500 4C000015
	ds_read_b32 v77, v21 offset:21824                          // 000000006364: D86C5540 4D000015
	ds_read_b32 v78, v21 offset:23936                          // 00000000636C: D86C5D80 4E000015
	ds_read_b32 v79, v21 offset:24000                          // 000000006374: D86C5DC0 4F000015
	ds_read_b32 v80, v21 offset:26112                          // 00000000637C: D86C6600 50000015
	ds_read_b32 v81, v21 offset:26176                          // 000000006384: D86C6640 51000015
	ds_read_b32 v82, v21 offset:28288                          // 00000000638C: D86C6E80 52000015
	ds_read_b32 v83, v21 offset:28352                          // 000000006394: D86C6EC0 53000015
	ds_read_b32 v84, v21 offset:30464                          // 00000000639C: D86C7700 54000015
	ds_read_b32 v85, v21 offset:30528                          // 0000000063A4: D86C7740 55000015
	ds_read_b32 v86, v21 offset:32640                          // 0000000063AC: D86C7F80 56000015
	ds_read_b32 v87, v21 offset:32704                          // 0000000063B4: D86C7FC0 57000015
	s_waitcnt lgkmcnt(0)                                       // 0000000063BC: BF8CC07F
	s_mov_b32 s36, -1                                          // 0000000063C0: BEA400C1
	s_mov_b32 s37, -1                                          // 0000000063C4: BEA500C1
	v_mov_b32_e32 v7, 0                                        // 0000000063C8: 7E0E0280
	s_or_b32 s9, s9, 0x40000                                   // 0000000063CC: 8709FF09 00040000
	s_mov_b64 exec, s[36:37]                                   // 0000000063D4: BEFE0124
	v_mov_b32_e32 v6, v44                                      // 0000000063D8: 7E0C032C
	s_mov_b64 s[60:61], 0                                      // 0000000063DC: BEBC0180
	v_readlane_b32 s82, v3, 0                                  // 0000000063E0: D2890052 00010103
	s_and_b32 s82, s82, 0xffffff                               // 0000000063E8: 8652FF52 00FFFFFF
	s_cmp_lt_u32 s82, s66                                      // 0000000063F0: BF0A4252
	s_cselect_b32 s20, s36, s60                                // 0000000063F4: 85143C24
	v_readlane_b32 s82, v3, 1                                  // 0000000063F8: D2890052 00010303
	s_and_b32 s82, s82, 0xffffff                               // 000000006400: 8652FF52 00FFFFFF
	s_cmp_lt_u32 s82, s66                                      // 000000006408: BF0A4252
	s_cselect_b32 s21, s36, s60                                // 00000000640C: 85153C24
	s_mov_b64 exec, s[20:21]                                   // 000000006410: BEFE0114
	buffer_store_dword v56, v6, s[8:11], 0 offen               // 000000006414: E0701000 80023806
	buffer_store_dword v58, v6, s[8:11], 0 offen offset:128    // 00000000641C: E0701080 80023A06
	buffer_store_dword v60, v6, s[8:11], 0 offen offset:256    // 000000006424: E0701100 80023C06
	buffer_store_dword v62, v6, s[8:11], 0 offen offset:384    // 00000000642C: E0701180 80023E06
	s_mov_b64 exec, s[36:37]                                   // 000000006434: BEFE0124
	v_mov_b32_e32 v6, v45                                      // 000000006438: 7E0C032D
	s_mov_b64 s[60:61], 0                                      // 00000000643C: BEBC0180
	v_readlane_b32 s82, v3, 2                                  // 000000006440: D2890052 00010503
	s_and_b32 s82, s82, 0xffffff                               // 000000006448: 8652FF52 00FFFFFF
	s_cmp_lt_u32 s82, s66                                      // 000000006450: BF0A4252
	s_cselect_b32 s20, s36, s60                                // 000000006454: 85143C24
	v_readlane_b32 s82, v3, 3                                  // 000000006458: D2890052 00010703
	s_and_b32 s82, s82, 0xffffff                               // 000000006460: 8652FF52 00FFFFFF
	s_cmp_lt_u32 s82, s66                                      // 000000006468: BF0A4252
	s_cselect_b32 s21, s36, s60                                // 00000000646C: 85153C24
	s_mov_b64 exec, s[20:21]                                   // 000000006470: BEFE0114
	buffer_store_dword v57, v6, s[8:11], 0 offen               // 000000006474: E0701000 80023906
	buffer_store_dword v59, v6, s[8:11], 0 offen offset:128    // 00000000647C: E0701080 80023B06
	buffer_store_dword v61, v6, s[8:11], 0 offen offset:256    // 000000006484: E0701100 80023D06
	buffer_store_dword v63, v6, s[8:11], 0 offen offset:384    // 00000000648C: E0701180 80023F06
	s_mov_b64 exec, s[36:37]                                   // 000000006494: BEFE0124
	v_mov_b32_e32 v6, v46                                      // 000000006498: 7E0C032E
	s_mov_b64 s[60:61], 0                                      // 00000000649C: BEBC0180
	v_readlane_b32 s82, v3, 4                                  // 0000000064A0: D2890052 00010903
	s_and_b32 s82, s82, 0xffffff                               // 0000000064A8: 8652FF52 00FFFFFF
	s_cmp_lt_u32 s82, s66                                      // 0000000064B0: BF0A4252
	s_cselect_b32 s20, s36, s60                                // 0000000064B4: 85143C24
	v_readlane_b32 s82, v3, 5                                  // 0000000064B8: D2890052 00010B03
	s_and_b32 s82, s82, 0xffffff                               // 0000000064C0: 8652FF52 00FFFFFF
	s_cmp_lt_u32 s82, s66                                      // 0000000064C8: BF0A4252
	s_cselect_b32 s21, s36, s60                                // 0000000064CC: 85153C24
	s_mov_b64 exec, s[20:21]                                   // 0000000064D0: BEFE0114
	buffer_store_dword v64, v6, s[8:11], 0 offen               // 0000000064D4: E0701000 80024006
	buffer_store_dword v66, v6, s[8:11], 0 offen offset:128    // 0000000064DC: E0701080 80024206
	buffer_store_dword v68, v6, s[8:11], 0 offen offset:256    // 0000000064E4: E0701100 80024406
	buffer_store_dword v70, v6, s[8:11], 0 offen offset:384    // 0000000064EC: E0701180 80024606
	s_mov_b64 exec, s[36:37]                                   // 0000000064F4: BEFE0124
	v_mov_b32_e32 v6, v47                                      // 0000000064F8: 7E0C032F
	s_mov_b64 s[60:61], 0                                      // 0000000064FC: BEBC0180
	v_readlane_b32 s82, v3, 6                                  // 000000006500: D2890052 00010D03
	s_and_b32 s82, s82, 0xffffff                               // 000000006508: 8652FF52 00FFFFFF
	s_cmp_lt_u32 s82, s66                                      // 000000006510: BF0A4252
	s_cselect_b32 s20, s36, s60                                // 000000006514: 85143C24
	v_readlane_b32 s82, v3, 7                                  // 000000006518: D2890052 00010F03
	s_and_b32 s82, s82, 0xffffff                               // 000000006520: 8652FF52 00FFFFFF
	s_cmp_lt_u32 s82, s66                                      // 000000006528: BF0A4252
	s_cselect_b32 s21, s36, s60                                // 00000000652C: 85153C24
	s_mov_b64 exec, s[20:21]                                   // 000000006530: BEFE0114
	buffer_store_dword v65, v6, s[8:11], 0 offen               // 000000006534: E0701000 80024106
	buffer_store_dword v67, v6, s[8:11], 0 offen offset:128    // 00000000653C: E0701080 80024306
	buffer_store_dword v69, v6, s[8:11], 0 offen offset:256    // 000000006544: E0701100 80024506
	buffer_store_dword v71, v6, s[8:11], 0 offen offset:384    // 00000000654C: E0701180 80024706
	s_mov_b64 exec, s[36:37]                                   // 000000006554: BEFE0124
	v_mov_b32_e32 v6, v48                                      // 000000006558: 7E0C0330
	s_mov_b64 s[60:61], 0                                      // 00000000655C: BEBC0180
	v_readlane_b32 s82, v3, 8                                  // 000000006560: D2890052 00011103
	s_and_b32 s82, s82, 0xffffff                               // 000000006568: 8652FF52 00FFFFFF
	s_cmp_lt_u32 s82, s66                                      // 000000006570: BF0A4252
	s_cselect_b32 s20, s36, s60                                // 000000006574: 85143C24
	v_readlane_b32 s82, v3, 9                                  // 000000006578: D2890052 00011303
	s_and_b32 s82, s82, 0xffffff                               // 000000006580: 8652FF52 00FFFFFF
	s_cmp_lt_u32 s82, s66                                      // 000000006588: BF0A4252
	s_cselect_b32 s21, s36, s60                                // 00000000658C: 85153C24
	s_mov_b64 exec, s[20:21]                                   // 000000006590: BEFE0114
	buffer_store_dword v72, v6, s[8:11], 0 offen               // 000000006594: E0701000 80024806
	buffer_store_dword v74, v6, s[8:11], 0 offen offset:128    // 00000000659C: E0701080 80024A06
	buffer_store_dword v76, v6, s[8:11], 0 offen offset:256    // 0000000065A4: E0701100 80024C06
	buffer_store_dword v78, v6, s[8:11], 0 offen offset:384    // 0000000065AC: E0701180 80024E06
	s_mov_b64 exec, s[36:37]                                   // 0000000065B4: BEFE0124
	v_mov_b32_e32 v6, v49                                      // 0000000065B8: 7E0C0331
	s_mov_b64 s[60:61], 0                                      // 0000000065BC: BEBC0180
	v_readlane_b32 s82, v3, 10                                 // 0000000065C0: D2890052 00011503
	s_and_b32 s82, s82, 0xffffff                               // 0000000065C8: 8652FF52 00FFFFFF
	s_cmp_lt_u32 s82, s66                                      // 0000000065D0: BF0A4252
	s_cselect_b32 s20, s36, s60                                // 0000000065D4: 85143C24
	v_readlane_b32 s82, v3, 11                                 // 0000000065D8: D2890052 00011703
	s_and_b32 s82, s82, 0xffffff                               // 0000000065E0: 8652FF52 00FFFFFF
	s_cmp_lt_u32 s82, s66                                      // 0000000065E8: BF0A4252
	s_cselect_b32 s21, s36, s60                                // 0000000065EC: 85153C24
	s_mov_b64 exec, s[20:21]                                   // 0000000065F0: BEFE0114
	buffer_store_dword v73, v6, s[8:11], 0 offen               // 0000000065F4: E0701000 80024906
	buffer_store_dword v75, v6, s[8:11], 0 offen offset:128    // 0000000065FC: E0701080 80024B06
	buffer_store_dword v77, v6, s[8:11], 0 offen offset:256    // 000000006604: E0701100 80024D06
	buffer_store_dword v79, v6, s[8:11], 0 offen offset:384    // 00000000660C: E0701180 80024F06
	s_mov_b64 exec, s[36:37]                                   // 000000006614: BEFE0124
	v_mov_b32_e32 v6, v50                                      // 000000006618: 7E0C0332
	s_mov_b64 s[60:61], 0                                      // 00000000661C: BEBC0180
	v_readlane_b32 s82, v3, 12                                 // 000000006620: D2890052 00011903
	s_and_b32 s82, s82, 0xffffff                               // 000000006628: 8652FF52 00FFFFFF
	s_cmp_lt_u32 s82, s66                                      // 000000006630: BF0A4252
	s_cselect_b32 s20, s36, s60                                // 000000006634: 85143C24
	v_readlane_b32 s82, v3, 13                                 // 000000006638: D2890052 00011B03
	s_and_b32 s82, s82, 0xffffff                               // 000000006640: 8652FF52 00FFFFFF
	s_cmp_lt_u32 s82, s66                                      // 000000006648: BF0A4252
	s_cselect_b32 s21, s36, s60                                // 00000000664C: 85153C24
	s_mov_b64 exec, s[20:21]                                   // 000000006650: BEFE0114
	buffer_store_dword v80, v6, s[8:11], 0 offen               // 000000006654: E0701000 80025006
	buffer_store_dword v82, v6, s[8:11], 0 offen offset:128    // 00000000665C: E0701080 80025206
	buffer_store_dword v84, v6, s[8:11], 0 offen offset:256    // 000000006664: E0701100 80025406
	buffer_store_dword v86, v6, s[8:11], 0 offen offset:384    // 00000000666C: E0701180 80025606
	s_mov_b64 exec, s[36:37]                                   // 000000006674: BEFE0124
	v_mov_b32_e32 v6, v51                                      // 000000006678: 7E0C0333
	s_mov_b64 s[60:61], 0                                      // 00000000667C: BEBC0180
	v_readlane_b32 s82, v3, 14                                 // 000000006680: D2890052 00011D03
	s_and_b32 s82, s82, 0xffffff                               // 000000006688: 8652FF52 00FFFFFF
	s_cmp_lt_u32 s82, s66                                      // 000000006690: BF0A4252
	s_cselect_b32 s20, s36, s60                                // 000000006694: 85143C24
	v_readlane_b32 s82, v3, 15                                 // 000000006698: D2890052 00011F03
	s_and_b32 s82, s82, 0xffffff                               // 0000000066A0: 8652FF52 00FFFFFF
	s_cmp_lt_u32 s82, s66                                      // 0000000066A8: BF0A4252
	s_cselect_b32 s21, s36, s60                                // 0000000066AC: 85153C24
	s_mov_b64 exec, s[20:21]                                   // 0000000066B0: BEFE0114
	buffer_store_dword v81, v6, s[8:11], 0 offen               // 0000000066B4: E0701000 80025106
	buffer_store_dword v83, v6, s[8:11], 0 offen offset:128    // 0000000066BC: E0701080 80025306
	buffer_store_dword v85, v6, s[8:11], 0 offen offset:256    // 0000000066C4: E0701100 80025506
	buffer_store_dword v87, v6, s[8:11], 0 offen offset:384    // 0000000066CC: E0701180 80025706
	s_mov_b64 exec, s[36:37]                                   // 0000000066D4: BEFE0124
	s_branch label_267E                                        // 0000000066D8: BF821744

00000000000066dc <label_0F37>:
	ds_write_b64 v20, v[56:57]                                 // 0000000066DC: D89A0000 00003814
	ds_write_b64 v20, v[60:61] offset:8704                     // 0000000066E4: D89A2200 00003C14
	ds_write_b64 v20, v[64:65] offset:17408                    // 0000000066EC: D89A4400 00004014
	ds_write_b64 v20, v[68:69] offset:26112                    // 0000000066F4: D89A6600 00004414
	ds_write_b64 v20, v[72:73] offset:2176                     // 0000000066FC: D89A0880 00004814
	ds_write_b64 v20, v[76:77] offset:10880                    // 000000006704: D89A2A80 00004C14
	ds_write_b64 v20, v[80:81] offset:19584                    // 00000000670C: D89A4C80 00005014
	ds_write_b64 v20, v[84:85] offset:28288                    // 000000006714: D89A6E80 00005414
	ds_write_b64 v20, v[88:89] offset:4352                     // 00000000671C: D89A1100 00005814
	ds_write_b64 v20, v[92:93] offset:13056                    // 000000006724: D89A3300 00005C14
	ds_write_b64 v20, v[96:97] offset:21760                    // 00000000672C: D89A5500 00006014
	ds_write_b64 v20, v[100:101] offset:30464                  // 000000006734: D89A7700 00006414
	ds_write_b64 v20, v[104:105] offset:6528                   // 00000000673C: D89A1980 00006814
	ds_write_b64 v20, v[108:109] offset:15232                  // 000000006744: D89A3B80 00006C14
	ds_write_b64 v20, v[112:113] offset:23936                  // 00000000674C: D89A5D80 00007014
	ds_write_b64 v20, v[116:117] offset:32640                  // 000000006754: D89A7F80 00007414
	v_lshrrev_b32_e32 v4, 5, v0                                // 00000000675C: 20080085
	v_xor_b32_e32 v5, 1, v4                                    // 000000006760: 2A0A0881
	s_mul_i32 s60, s65, 2                                      // 000000006764: 923C8241
	s_cmp_eq_u32 s88, 0                                        // 000000006768: BF068058
	s_cselect_b32 s61, 1, 4                                    // 00000000676C: 853D8481
	s_mul_i32 s60, s61, s60                                    // 000000006770: 923C3C3D
	v_readlane_b32 s82, v3, 0                                  // 000000006774: D2890052 00010103
	s_lshr_b32 s61, s82, 24                                    // 00000000677C: 8F3D9852
	s_and_b32 s82, s82, 0xffffff                               // 000000006780: 8652FF52 00FFFFFF
	s_mul_i32 s82, s82, s71                                    // 000000006788: 92524752
	s_mul_i32 s61, s60, s61                                    // 00000000678C: 923D3D3C
	s_add_u32 s82, s82, s61                                    // 000000006790: 80523D52
	v_mul_lo_u32 v6, v5, s82                                   // 000000006794: D2850006 0000A505
	v_readlane_b32 s82, v3, 1                                  // 00000000679C: D2890052 00010303
	s_lshr_b32 s61, s82, 24                                    // 0000000067A4: 8F3D9852
	s_and_b32 s82, s82, 0xffffff                               // 0000000067A8: 8652FF52 00FFFFFF
	s_mul_i32 s82, s82, s71                                    // 0000000067B0: 92524752
	s_mul_i32 s61, s60, s61                                    // 0000000067B4: 923D3D3C
	s_add_u32 s82, s82, s61                                    // 0000000067B8: 80523D52
	v_mul_lo_u32 v7, v4, s82                                   // 0000000067BC: D2850007 0000A504
	v_add_u32_e32 v44, v6, v7                                  // 0000000067C4: 68580F06
	v_readlane_b32 s82, v3, 2                                  // 0000000067C8: D2890052 00010503
	s_lshr_b32 s61, s82, 24                                    // 0000000067D0: 8F3D9852
	s_and_b32 s82, s82, 0xffffff                               // 0000000067D4: 8652FF52 00FFFFFF
	s_mul_i32 s82, s82, s71                                    // 0000000067DC: 92524752
	s_mul_i32 s61, s60, s61                                    // 0000000067E0: 923D3D3C
	s_add_u32 s82, s82, s61                                    // 0000000067E4: 80523D52
	v_mul_lo_u32 v6, v5, s82                                   // 0000000067E8: D2850006 0000A505
	v_readlane_b32 s82, v3, 3                                  // 0000000067F0: D2890052 00010703
	s_lshr_b32 s61, s82, 24                                    // 0000000067F8: 8F3D9852
	s_and_b32 s82, s82, 0xffffff                               // 0000000067FC: 8652FF52 00FFFFFF
	s_mul_i32 s82, s82, s71                                    // 000000006804: 92524752
	s_mul_i32 s61, s60, s61                                    // 000000006808: 923D3D3C
	s_add_u32 s82, s82, s61                                    // 00000000680C: 80523D52
	v_mul_lo_u32 v7, v4, s82                                   // 000000006810: D2850007 0000A504
	v_add_u32_e32 v45, v6, v7                                  // 000000006818: 685A0F06
	v_readlane_b32 s82, v3, 4                                  // 00000000681C: D2890052 00010903
	s_lshr_b32 s61, s82, 24                                    // 000000006824: 8F3D9852
	s_and_b32 s82, s82, 0xffffff                               // 000000006828: 8652FF52 00FFFFFF
	s_mul_i32 s82, s82, s71                                    // 000000006830: 92524752
	s_mul_i32 s61, s60, s61                                    // 000000006834: 923D3D3C
	s_add_u32 s82, s82, s61                                    // 000000006838: 80523D52
	v_mul_lo_u32 v6, v5, s82                                   // 00000000683C: D2850006 0000A505
	v_readlane_b32 s82, v3, 5                                  // 000000006844: D2890052 00010B03
	s_lshr_b32 s61, s82, 24                                    // 00000000684C: 8F3D9852
	s_and_b32 s82, s82, 0xffffff                               // 000000006850: 8652FF52 00FFFFFF
	s_mul_i32 s82, s82, s71                                    // 000000006858: 92524752
	s_mul_i32 s61, s60, s61                                    // 00000000685C: 923D3D3C
	s_add_u32 s82, s82, s61                                    // 000000006860: 80523D52
	v_mul_lo_u32 v7, v4, s82                                   // 000000006864: D2850007 0000A504
	v_add_u32_e32 v46, v6, v7                                  // 00000000686C: 685C0F06
	v_readlane_b32 s82, v3, 6                                  // 000000006870: D2890052 00010D03
	s_lshr_b32 s61, s82, 24                                    // 000000006878: 8F3D9852
	s_and_b32 s82, s82, 0xffffff                               // 00000000687C: 8652FF52 00FFFFFF
	s_mul_i32 s82, s82, s71                                    // 000000006884: 92524752
	s_mul_i32 s61, s60, s61                                    // 000000006888: 923D3D3C
	s_add_u32 s82, s82, s61                                    // 00000000688C: 80523D52
	v_mul_lo_u32 v6, v5, s82                                   // 000000006890: D2850006 0000A505
	v_readlane_b32 s82, v3, 7                                  // 000000006898: D2890052 00010F03
	s_lshr_b32 s61, s82, 24                                    // 0000000068A0: 8F3D9852
	s_and_b32 s82, s82, 0xffffff                               // 0000000068A4: 8652FF52 00FFFFFF
	s_mul_i32 s82, s82, s71                                    // 0000000068AC: 92524752
	s_mul_i32 s61, s60, s61                                    // 0000000068B0: 923D3D3C
	s_add_u32 s82, s82, s61                                    // 0000000068B4: 80523D52
	v_mul_lo_u32 v7, v4, s82                                   // 0000000068B8: D2850007 0000A504
	v_add_u32_e32 v47, v6, v7                                  // 0000000068C0: 685E0F06
	v_readlane_b32 s82, v3, 8                                  // 0000000068C4: D2890052 00011103
	s_lshr_b32 s61, s82, 24                                    // 0000000068CC: 8F3D9852
	s_and_b32 s82, s82, 0xffffff                               // 0000000068D0: 8652FF52 00FFFFFF
	s_mul_i32 s82, s82, s71                                    // 0000000068D8: 92524752
	s_mul_i32 s61, s60, s61                                    // 0000000068DC: 923D3D3C
	s_add_u32 s82, s82, s61                                    // 0000000068E0: 80523D52
	v_mul_lo_u32 v6, v5, s82                                   // 0000000068E4: D2850006 0000A505
	v_readlane_b32 s82, v3, 9                                  // 0000000068EC: D2890052 00011303
	s_lshr_b32 s61, s82, 24                                    // 0000000068F4: 8F3D9852
	s_and_b32 s82, s82, 0xffffff                               // 0000000068F8: 8652FF52 00FFFFFF
	s_mul_i32 s82, s82, s71                                    // 000000006900: 92524752
	s_mul_i32 s61, s60, s61                                    // 000000006904: 923D3D3C
	s_add_u32 s82, s82, s61                                    // 000000006908: 80523D52
	v_mul_lo_u32 v7, v4, s82                                   // 00000000690C: D2850007 0000A504
	v_add_u32_e32 v48, v6, v7                                  // 000000006914: 68600F06
	v_readlane_b32 s82, v3, 10                                 // 000000006918: D2890052 00011503
	s_lshr_b32 s61, s82, 24                                    // 000000006920: 8F3D9852
	s_and_b32 s82, s82, 0xffffff                               // 000000006924: 8652FF52 00FFFFFF
	s_mul_i32 s82, s82, s71                                    // 00000000692C: 92524752
	s_mul_i32 s61, s60, s61                                    // 000000006930: 923D3D3C
	s_add_u32 s82, s82, s61                                    // 000000006934: 80523D52
	v_mul_lo_u32 v6, v5, s82                                   // 000000006938: D2850006 0000A505
	v_readlane_b32 s82, v3, 11                                 // 000000006940: D2890052 00011703
	s_lshr_b32 s61, s82, 24                                    // 000000006948: 8F3D9852
	s_and_b32 s82, s82, 0xffffff                               // 00000000694C: 8652FF52 00FFFFFF
	s_mul_i32 s82, s82, s71                                    // 000000006954: 92524752
	s_mul_i32 s61, s60, s61                                    // 000000006958: 923D3D3C
	s_add_u32 s82, s82, s61                                    // 00000000695C: 80523D52
	v_mul_lo_u32 v7, v4, s82                                   // 000000006960: D2850007 0000A504
	v_add_u32_e32 v49, v6, v7                                  // 000000006968: 68620F06
	v_readlane_b32 s82, v3, 12                                 // 00000000696C: D2890052 00011903
	s_lshr_b32 s61, s82, 24                                    // 000000006974: 8F3D9852
	s_and_b32 s82, s82, 0xffffff                               // 000000006978: 8652FF52 00FFFFFF
	s_mul_i32 s82, s82, s71                                    // 000000006980: 92524752
	s_mul_i32 s61, s60, s61                                    // 000000006984: 923D3D3C
	s_add_u32 s82, s82, s61                                    // 000000006988: 80523D52
	v_mul_lo_u32 v6, v5, s82                                   // 00000000698C: D2850006 0000A505
	v_readlane_b32 s82, v3, 13                                 // 000000006994: D2890052 00011B03
	s_lshr_b32 s61, s82, 24                                    // 00000000699C: 8F3D9852
	s_and_b32 s82, s82, 0xffffff                               // 0000000069A0: 8652FF52 00FFFFFF
	s_mul_i32 s82, s82, s71                                    // 0000000069A8: 92524752
	s_mul_i32 s61, s60, s61                                    // 0000000069AC: 923D3D3C
	s_add_u32 s82, s82, s61                                    // 0000000069B0: 80523D52
	v_mul_lo_u32 v7, v4, s82                                   // 0000000069B4: D2850007 0000A504
	v_add_u32_e32 v50, v6, v7                                  // 0000000069BC: 68640F06
	v_readlane_b32 s82, v3, 14                                 // 0000000069C0: D2890052 00011D03
	s_lshr_b32 s61, s82, 24                                    // 0000000069C8: 8F3D9852
	s_and_b32 s82, s82, 0xffffff                               // 0000000069CC: 8652FF52 00FFFFFF
	s_mul_i32 s82, s82, s71                                    // 0000000069D4: 92524752
	s_mul_i32 s61, s60, s61                                    // 0000000069D8: 923D3D3C
	s_add_u32 s82, s82, s61                                    // 0000000069DC: 80523D52
	v_mul_lo_u32 v6, v5, s82                                   // 0000000069E0: D2850006 0000A505
	v_readlane_b32 s82, v3, 15                                 // 0000000069E8: D2890052 00011F03
	s_lshr_b32 s61, s82, 24                                    // 0000000069F0: 8F3D9852
	s_and_b32 s82, s82, 0xffffff                               // 0000000069F4: 8652FF52 00FFFFFF
	s_mul_i32 s82, s82, s71                                    // 0000000069FC: 92524752
	s_mul_i32 s61, s60, s61                                    // 000000006A00: 923D3D3C
	s_add_u32 s82, s82, s61                                    // 000000006A04: 80523D52
	v_mul_lo_u32 v7, v4, s82                                   // 000000006A08: D2850007 0000A504
	v_add_u32_e32 v51, v6, v7                                  // 000000006A10: 68660F06
	v_and_b32_e32 v4, 31, v0                                   // 000000006A14: 2608009F
	v_lshrrev_b32_e32 v4, 1, v4                                // 000000006A18: 20080881
	s_cmp_eq_u32 s88, 0                                        // 000000006A1C: BF068058
	s_cselect_b32 s61, 2, 4                                    // 000000006A20: 853D8482
	v_mul_lo_u32 v4, v4, s61                                   // 000000006A24: D2850004 00007B04
	v_and_b32_e64 v5, v0, 1                                    // 000000006A2C: D1130005 00010300
	v_add_u32_e32 v4, v4, v5                                   // 000000006A34: 68080B04
	v_lshlrev_b32_e32 v4, 2, v4                                // 000000006A38: 24080882
	v_add_u32_e32 v44, v44, v4                                 // 000000006A3C: 6858092C
	v_add_u32_e32 v45, v45, v4                                 // 000000006A40: 685A092D
	v_add_u32_e32 v46, v46, v4                                 // 000000006A44: 685C092E
	v_add_u32_e32 v47, v47, v4                                 // 000000006A48: 685E092F
	v_add_u32_e32 v48, v48, v4                                 // 000000006A4C: 68600930
	v_add_u32_e32 v49, v49, v4                                 // 000000006A50: 68620931
	v_add_u32_e32 v50, v50, v4                                 // 000000006A54: 68640932
	v_add_u32_e32 v51, v51, v4                                 // 000000006A58: 68660933
	s_waitcnt lgkmcnt(0)                                       // 000000006A5C: BF8CC07F
	s_barrier                                                  // 000000006A60: BF8A0000
	ds_read_b32 v56, v21                                       // 000000006A64: D86C0000 38000015
	ds_read_b32 v57, v21 offset:64                             // 000000006A6C: D86C0040 39000015
	ds_read_b32 v60, v21 offset:2176                           // 000000006A74: D86C0880 3C000015
	ds_read_b32 v61, v21 offset:2240                           // 000000006A7C: D86C08C0 3D000015
	ds_read_b32 v64, v21 offset:4352                           // 000000006A84: D86C1100 40000015
	ds_read_b32 v65, v21 offset:4416                           // 000000006A8C: D86C1140 41000015
	ds_read_b32 v68, v21 offset:6528                           // 000000006A94: D86C1980 44000015
	ds_read_b32 v69, v21 offset:6592                           // 000000006A9C: D86C19C0 45000015
	ds_read_b32 v72, v21 offset:8704                           // 000000006AA4: D86C2200 48000015
	ds_read_b32 v73, v21 offset:8768                           // 000000006AAC: D86C2240 49000015
	ds_read_b32 v76, v21 offset:10880                          // 000000006AB4: D86C2A80 4C000015
	ds_read_b32 v77, v21 offset:10944                          // 000000006ABC: D86C2AC0 4D000015
	ds_read_b32 v80, v21 offset:13056                          // 000000006AC4: D86C3300 50000015
	ds_read_b32 v81, v21 offset:13120                          // 000000006ACC: D86C3340 51000015
	ds_read_b32 v84, v21 offset:15232                          // 000000006AD4: D86C3B80 54000015
	ds_read_b32 v85, v21 offset:15296                          // 000000006ADC: D86C3BC0 55000015
	ds_read_b32 v88, v21 offset:17408                          // 000000006AE4: D86C4400 58000015
	ds_read_b32 v89, v21 offset:17472                          // 000000006AEC: D86C4440 59000015
	ds_read_b32 v92, v21 offset:19584                          // 000000006AF4: D86C4C80 5C000015
	ds_read_b32 v93, v21 offset:19648                          // 000000006AFC: D86C4CC0 5D000015
	ds_read_b32 v96, v21 offset:21760                          // 000000006B04: D86C5500 60000015
	ds_read_b32 v97, v21 offset:21824                          // 000000006B0C: D86C5540 61000015
	ds_read_b32 v100, v21 offset:23936                         // 000000006B14: D86C5D80 64000015
	ds_read_b32 v101, v21 offset:24000                         // 000000006B1C: D86C5DC0 65000015
	ds_read_b32 v104, v21 offset:26112                         // 000000006B24: D86C6600 68000015
	ds_read_b32 v105, v21 offset:26176                         // 000000006B2C: D86C6640 69000015
	ds_read_b32 v108, v21 offset:28288                         // 000000006B34: D86C6E80 6C000015
	ds_read_b32 v109, v21 offset:28352                         // 000000006B3C: D86C6EC0 6D000015
	ds_read_b32 v112, v21 offset:30464                         // 000000006B44: D86C7700 70000015
	ds_read_b32 v113, v21 offset:30528                         // 000000006B4C: D86C7740 71000015
	ds_read_b32 v116, v21 offset:32640                         // 000000006B54: D86C7F80 74000015
	ds_read_b32 v117, v21 offset:32704                         // 000000006B5C: D86C7FC0 75000015
	s_waitcnt lgkmcnt(0)                                       // 000000006B64: BF8CC07F
	s_mov_b32 s36, -1                                          // 000000006B68: BEA400C1
	s_mov_b32 s37, -1                                          // 000000006B6C: BEA500C1
	v_mov_b32_e32 v7, 0                                        // 000000006B70: 7E0E0280
	s_mov_b64 exec, s[36:37]                                   // 000000006B74: BEFE0124
	v_mov_b32_e32 v6, v44                                      // 000000006B78: 7E0C032C
	s_mov_b64 s[60:61], 0                                      // 000000006B7C: BEBC0180
	v_readlane_b32 s82, v3, 0                                  // 000000006B80: D2890052 00010103
	s_and_b32 s82, s82, 0xffffff                               // 000000006B88: 8652FF52 00FFFFFF
	s_cmp_lt_u32 s82, s66                                      // 000000006B90: BF0A4252
	s_cselect_b32 s20, s36, s60                                // 000000006B94: 85143C24
	v_readlane_b32 s82, v3, 1                                  // 000000006B98: D2890052 00010303
	s_and_b32 s82, s82, 0xffffff                               // 000000006BA0: 8652FF52 00FFFFFF
	s_cmp_lt_u32 s82, s66                                      // 000000006BA8: BF0A4252
	s_cselect_b32 s21, s36, s60                                // 000000006BAC: 85153C24
	s_mov_b64 exec, s[20:21]                                   // 000000006BB0: BEFE0114
	global_atomic_add_f32 v6, v56, s[8:9]                      // 000000006BB4: DD348000 00083806
	global_atomic_add_f32 v6, v60, s[8:9] offset:256           // 000000006BBC: DD348100 00083C06
	global_atomic_add_f32 v6, v64, s[8:9] offset:512           // 000000006BC4: DD348200 00084006
	global_atomic_add_f32 v6, v68, s[8:9] offset:768           // 000000006BCC: DD348300 00084406
	s_mov_b64 exec, s[36:37]                                   // 000000006BD4: BEFE0124
	v_mov_b32_e32 v6, v45                                      // 000000006BD8: 7E0C032D
	s_mov_b64 s[60:61], 0                                      // 000000006BDC: BEBC0180
	v_readlane_b32 s82, v3, 2                                  // 000000006BE0: D2890052 00010503
	s_and_b32 s82, s82, 0xffffff                               // 000000006BE8: 8652FF52 00FFFFFF
	s_cmp_lt_u32 s82, s66                                      // 000000006BF0: BF0A4252
	s_cselect_b32 s20, s36, s60                                // 000000006BF4: 85143C24
	v_readlane_b32 s82, v3, 3                                  // 000000006BF8: D2890052 00010703
	s_and_b32 s82, s82, 0xffffff                               // 000000006C00: 8652FF52 00FFFFFF
	s_cmp_lt_u32 s82, s66                                      // 000000006C08: BF0A4252
	s_cselect_b32 s21, s36, s60                                // 000000006C0C: 85153C24
	s_mov_b64 exec, s[20:21]                                   // 000000006C10: BEFE0114
	global_atomic_add_f32 v6, v57, s[8:9]                      // 000000006C14: DD348000 00083906
	global_atomic_add_f32 v6, v61, s[8:9] offset:256           // 000000006C1C: DD348100 00083D06
	global_atomic_add_f32 v6, v65, s[8:9] offset:512           // 000000006C24: DD348200 00084106
	global_atomic_add_f32 v6, v69, s[8:9] offset:768           // 000000006C2C: DD348300 00084506
	s_mov_b64 exec, s[36:37]                                   // 000000006C34: BEFE0124
	v_mov_b32_e32 v6, v46                                      // 000000006C38: 7E0C032E
	s_mov_b64 s[60:61], 0                                      // 000000006C3C: BEBC0180
	v_readlane_b32 s82, v3, 4                                  // 000000006C40: D2890052 00010903
	s_and_b32 s82, s82, 0xffffff                               // 000000006C48: 8652FF52 00FFFFFF
	s_cmp_lt_u32 s82, s66                                      // 000000006C50: BF0A4252
	s_cselect_b32 s20, s36, s60                                // 000000006C54: 85143C24
	v_readlane_b32 s82, v3, 5                                  // 000000006C58: D2890052 00010B03
	s_and_b32 s82, s82, 0xffffff                               // 000000006C60: 8652FF52 00FFFFFF
	s_cmp_lt_u32 s82, s66                                      // 000000006C68: BF0A4252
	s_cselect_b32 s21, s36, s60                                // 000000006C6C: 85153C24
	s_mov_b64 exec, s[20:21]                                   // 000000006C70: BEFE0114
	global_atomic_add_f32 v6, v72, s[8:9]                      // 000000006C74: DD348000 00084806
	global_atomic_add_f32 v6, v76, s[8:9] offset:256           // 000000006C7C: DD348100 00084C06
	global_atomic_add_f32 v6, v80, s[8:9] offset:512           // 000000006C84: DD348200 00085006
	global_atomic_add_f32 v6, v84, s[8:9] offset:768           // 000000006C8C: DD348300 00085406
	s_mov_b64 exec, s[36:37]                                   // 000000006C94: BEFE0124
	v_mov_b32_e32 v6, v47                                      // 000000006C98: 7E0C032F
	s_mov_b64 s[60:61], 0                                      // 000000006C9C: BEBC0180
	v_readlane_b32 s82, v3, 6                                  // 000000006CA0: D2890052 00010D03
	s_and_b32 s82, s82, 0xffffff                               // 000000006CA8: 8652FF52 00FFFFFF
	s_cmp_lt_u32 s82, s66                                      // 000000006CB0: BF0A4252
	s_cselect_b32 s20, s36, s60                                // 000000006CB4: 85143C24
	v_readlane_b32 s82, v3, 7                                  // 000000006CB8: D2890052 00010F03
	s_and_b32 s82, s82, 0xffffff                               // 000000006CC0: 8652FF52 00FFFFFF
	s_cmp_lt_u32 s82, s66                                      // 000000006CC8: BF0A4252
	s_cselect_b32 s21, s36, s60                                // 000000006CCC: 85153C24
	s_mov_b64 exec, s[20:21]                                   // 000000006CD0: BEFE0114
	global_atomic_add_f32 v6, v73, s[8:9]                      // 000000006CD4: DD348000 00084906
	global_atomic_add_f32 v6, v77, s[8:9] offset:256           // 000000006CDC: DD348100 00084D06
	global_atomic_add_f32 v6, v81, s[8:9] offset:512           // 000000006CE4: DD348200 00085106
	global_atomic_add_f32 v6, v85, s[8:9] offset:768           // 000000006CEC: DD348300 00085506
	s_mov_b64 exec, s[36:37]                                   // 000000006CF4: BEFE0124
	v_mov_b32_e32 v6, v48                                      // 000000006CF8: 7E0C0330
	s_mov_b64 s[60:61], 0                                      // 000000006CFC: BEBC0180
	v_readlane_b32 s82, v3, 8                                  // 000000006D00: D2890052 00011103
	s_and_b32 s82, s82, 0xffffff                               // 000000006D08: 8652FF52 00FFFFFF
	s_cmp_lt_u32 s82, s66                                      // 000000006D10: BF0A4252
	s_cselect_b32 s20, s36, s60                                // 000000006D14: 85143C24
	v_readlane_b32 s82, v3, 9                                  // 000000006D18: D2890052 00011303
	s_and_b32 s82, s82, 0xffffff                               // 000000006D20: 8652FF52 00FFFFFF
	s_cmp_lt_u32 s82, s66                                      // 000000006D28: BF0A4252
	s_cselect_b32 s21, s36, s60                                // 000000006D2C: 85153C24
	s_mov_b64 exec, s[20:21]                                   // 000000006D30: BEFE0114
	global_atomic_add_f32 v6, v88, s[8:9]                      // 000000006D34: DD348000 00085806
	global_atomic_add_f32 v6, v92, s[8:9] offset:256           // 000000006D3C: DD348100 00085C06
	global_atomic_add_f32 v6, v96, s[8:9] offset:512           // 000000006D44: DD348200 00086006
	global_atomic_add_f32 v6, v100, s[8:9] offset:768          // 000000006D4C: DD348300 00086406
	s_mov_b64 exec, s[36:37]                                   // 000000006D54: BEFE0124
	v_mov_b32_e32 v6, v49                                      // 000000006D58: 7E0C0331
	s_mov_b64 s[60:61], 0                                      // 000000006D5C: BEBC0180
	v_readlane_b32 s82, v3, 10                                 // 000000006D60: D2890052 00011503
	s_and_b32 s82, s82, 0xffffff                               // 000000006D68: 8652FF52 00FFFFFF
	s_cmp_lt_u32 s82, s66                                      // 000000006D70: BF0A4252
	s_cselect_b32 s20, s36, s60                                // 000000006D74: 85143C24
	v_readlane_b32 s82, v3, 11                                 // 000000006D78: D2890052 00011703
	s_and_b32 s82, s82, 0xffffff                               // 000000006D80: 8652FF52 00FFFFFF
	s_cmp_lt_u32 s82, s66                                      // 000000006D88: BF0A4252
	s_cselect_b32 s21, s36, s60                                // 000000006D8C: 85153C24
	s_mov_b64 exec, s[20:21]                                   // 000000006D90: BEFE0114
	global_atomic_add_f32 v6, v89, s[8:9]                      // 000000006D94: DD348000 00085906
	global_atomic_add_f32 v6, v93, s[8:9] offset:256           // 000000006D9C: DD348100 00085D06
	global_atomic_add_f32 v6, v97, s[8:9] offset:512           // 000000006DA4: DD348200 00086106
	global_atomic_add_f32 v6, v101, s[8:9] offset:768          // 000000006DAC: DD348300 00086506
	s_mov_b64 exec, s[36:37]                                   // 000000006DB4: BEFE0124
	v_mov_b32_e32 v6, v50                                      // 000000006DB8: 7E0C0332
	s_mov_b64 s[60:61], 0                                      // 000000006DBC: BEBC0180
	v_readlane_b32 s82, v3, 12                                 // 000000006DC0: D2890052 00011903
	s_and_b32 s82, s82, 0xffffff                               // 000000006DC8: 8652FF52 00FFFFFF
	s_cmp_lt_u32 s82, s66                                      // 000000006DD0: BF0A4252
	s_cselect_b32 s20, s36, s60                                // 000000006DD4: 85143C24
	v_readlane_b32 s82, v3, 13                                 // 000000006DD8: D2890052 00011B03
	s_and_b32 s82, s82, 0xffffff                               // 000000006DE0: 8652FF52 00FFFFFF
	s_cmp_lt_u32 s82, s66                                      // 000000006DE8: BF0A4252
	s_cselect_b32 s21, s36, s60                                // 000000006DEC: 85153C24
	s_mov_b64 exec, s[20:21]                                   // 000000006DF0: BEFE0114
	global_atomic_add_f32 v6, v104, s[8:9]                     // 000000006DF4: DD348000 00086806
	global_atomic_add_f32 v6, v108, s[8:9] offset:256          // 000000006DFC: DD348100 00086C06
	global_atomic_add_f32 v6, v112, s[8:9] offset:512          // 000000006E04: DD348200 00087006
	global_atomic_add_f32 v6, v116, s[8:9] offset:768          // 000000006E0C: DD348300 00087406
	s_mov_b64 exec, s[36:37]                                   // 000000006E14: BEFE0124
	v_mov_b32_e32 v6, v51                                      // 000000006E18: 7E0C0333
	s_mov_b64 s[60:61], 0                                      // 000000006E1C: BEBC0180
	v_readlane_b32 s82, v3, 14                                 // 000000006E20: D2890052 00011D03
	s_and_b32 s82, s82, 0xffffff                               // 000000006E28: 8652FF52 00FFFFFF
	s_cmp_lt_u32 s82, s66                                      // 000000006E30: BF0A4252
	s_cselect_b32 s20, s36, s60                                // 000000006E34: 85143C24
	v_readlane_b32 s82, v3, 15                                 // 000000006E38: D2890052 00011F03
	s_and_b32 s82, s82, 0xffffff                               // 000000006E40: 8652FF52 00FFFFFF
	s_cmp_lt_u32 s82, s66                                      // 000000006E48: BF0A4252
	s_cselect_b32 s21, s36, s60                                // 000000006E4C: 85153C24
	s_mov_b64 exec, s[20:21]                                   // 000000006E50: BEFE0114
	global_atomic_add_f32 v6, v105, s[8:9]                     // 000000006E54: DD348000 00086906
	global_atomic_add_f32 v6, v109, s[8:9] offset:256          // 000000006E5C: DD348100 00086D06
	global_atomic_add_f32 v6, v113, s[8:9] offset:512          // 000000006E64: DD348200 00087106
	global_atomic_add_f32 v6, v117, s[8:9] offset:768          // 000000006E6C: DD348300 00087506
	s_mov_b64 exec, s[36:37]                                   // 000000006E74: BEFE0124
	ds_write_b64 v20, v[58:59]                                 // 000000006E78: D89A0000 00003A14
	ds_write_b64 v20, v[62:63] offset:8704                     // 000000006E80: D89A2200 00003E14
	ds_write_b64 v20, v[66:67] offset:17408                    // 000000006E88: D89A4400 00004214
	ds_write_b64 v20, v[70:71] offset:26112                    // 000000006E90: D89A6600 00004614
	ds_write_b64 v20, v[74:75] offset:2176                     // 000000006E98: D89A0880 00004A14
	ds_write_b64 v20, v[78:79] offset:10880                    // 000000006EA0: D89A2A80 00004E14
	ds_write_b64 v20, v[82:83] offset:19584                    // 000000006EA8: D89A4C80 00005214
	ds_write_b64 v20, v[86:87] offset:28288                    // 000000006EB0: D89A6E80 00005614
	ds_write_b64 v20, v[90:91] offset:4352                     // 000000006EB8: D89A1100 00005A14
	ds_write_b64 v20, v[94:95] offset:13056                    // 000000006EC0: D89A3300 00005E14
	ds_write_b64 v20, v[98:99] offset:21760                    // 000000006EC8: D89A5500 00006214
	ds_write_b64 v20, v[102:103] offset:30464                  // 000000006ED0: D89A7700 00006614
	ds_write_b64 v20, v[106:107] offset:6528                   // 000000006ED8: D89A1980 00006A14
	ds_write_b64 v20, v[110:111] offset:15232                  // 000000006EE0: D89A3B80 00006E14
	ds_write_b64 v20, v[114:115] offset:23936                  // 000000006EE8: D89A5D80 00007214
	ds_write_b64 v20, v[118:119] offset:32640                  // 000000006EF0: D89A7F80 00007614
	s_waitcnt lgkmcnt(0)                                       // 000000006EF8: BF8CC07F
	s_barrier                                                  // 000000006EFC: BF8A0000
	ds_read_b32 v58, v21                                       // 000000006F00: D86C0000 3A000015
	ds_read_b32 v59, v21 offset:64                             // 000000006F08: D86C0040 3B000015
	ds_read_b32 v62, v21 offset:2176                           // 000000006F10: D86C0880 3E000015
	ds_read_b32 v63, v21 offset:2240                           // 000000006F18: D86C08C0 3F000015
	ds_read_b32 v66, v21 offset:4352                           // 000000006F20: D86C1100 42000015
	ds_read_b32 v67, v21 offset:4416                           // 000000006F28: D86C1140 43000015
	ds_read_b32 v70, v21 offset:6528                           // 000000006F30: D86C1980 46000015
	ds_read_b32 v71, v21 offset:6592                           // 000000006F38: D86C19C0 47000015
	ds_read_b32 v74, v21 offset:8704                           // 000000006F40: D86C2200 4A000015
	ds_read_b32 v75, v21 offset:8768                           // 000000006F48: D86C2240 4B000015
	ds_read_b32 v78, v21 offset:10880                          // 000000006F50: D86C2A80 4E000015
	ds_read_b32 v79, v21 offset:10944                          // 000000006F58: D86C2AC0 4F000015
	ds_read_b32 v82, v21 offset:13056                          // 000000006F60: D86C3300 52000015
	ds_read_b32 v83, v21 offset:13120                          // 000000006F68: D86C3340 53000015
	ds_read_b32 v86, v21 offset:15232                          // 000000006F70: D86C3B80 56000015
	ds_read_b32 v87, v21 offset:15296                          // 000000006F78: D86C3BC0 57000015
	ds_read_b32 v90, v21 offset:17408                          // 000000006F80: D86C4400 5A000015
	ds_read_b32 v91, v21 offset:17472                          // 000000006F88: D86C4440 5B000015
	ds_read_b32 v94, v21 offset:19584                          // 000000006F90: D86C4C80 5E000015
	ds_read_b32 v95, v21 offset:19648                          // 000000006F98: D86C4CC0 5F000015
	ds_read_b32 v98, v21 offset:21760                          // 000000006FA0: D86C5500 62000015
	ds_read_b32 v99, v21 offset:21824                          // 000000006FA8: D86C5540 63000015
	ds_read_b32 v102, v21 offset:23936                         // 000000006FB0: D86C5D80 66000015
	ds_read_b32 v103, v21 offset:24000                         // 000000006FB8: D86C5DC0 67000015
	ds_read_b32 v106, v21 offset:26112                         // 000000006FC0: D86C6600 6A000015
	ds_read_b32 v107, v21 offset:26176                         // 000000006FC8: D86C6640 6B000015
	ds_read_b32 v110, v21 offset:28288                         // 000000006FD0: D86C6E80 6E000015
	ds_read_b32 v111, v21 offset:28352                         // 000000006FD8: D86C6EC0 6F000015
	ds_read_b32 v114, v21 offset:30464                         // 000000006FE0: D86C7700 72000015
	ds_read_b32 v115, v21 offset:30528                         // 000000006FE8: D86C7740 73000015
	ds_read_b32 v118, v21 offset:32640                         // 000000006FF0: D86C7F80 76000015
	ds_read_b32 v119, v21 offset:32704                         // 000000006FF8: D86C7FC0 77000015
	s_waitcnt lgkmcnt(0)                                       // 000000007000: BF8CC07F
	v_mov_b32_e32 v7, 0                                        // 000000007004: 7E0E0280
	s_mov_b64 exec, s[36:37]                                   // 000000007008: BEFE0124
	v_mov_b32_e32 v6, v44                                      // 00000000700C: 7E0C032C
	s_mov_b64 s[60:61], 0                                      // 000000007010: BEBC0180
	v_readlane_b32 s82, v3, 0                                  // 000000007014: D2890052 00010103
	s_and_b32 s82, s82, 0xffffff                               // 00000000701C: 8652FF52 00FFFFFF
	s_cmp_lt_u32 s82, s66                                      // 000000007024: BF0A4252
	s_cselect_b32 s20, s36, s60                                // 000000007028: 85143C24
	v_readlane_b32 s82, v3, 1                                  // 00000000702C: D2890052 00010303
	s_and_b32 s82, s82, 0xffffff                               // 000000007034: 8652FF52 00FFFFFF
	s_cmp_lt_u32 s82, s66                                      // 00000000703C: BF0A4252
	s_cselect_b32 s21, s36, s60                                // 000000007040: 85153C24
	s_mov_b64 exec, s[20:21]                                   // 000000007044: BEFE0114
	global_atomic_add_f32 v6, v58, s[8:9] offset:8             // 000000007048: DD348008 00083A06
	global_atomic_add_f32 v6, v62, s[8:9] offset:264           // 000000007050: DD348108 00083E06
	global_atomic_add_f32 v6, v66, s[8:9] offset:520           // 000000007058: DD348208 00084206
	global_atomic_add_f32 v6, v70, s[8:9] offset:776           // 000000007060: DD348308 00084606
	s_mov_b64 exec, s[36:37]                                   // 000000007068: BEFE0124
	v_mov_b32_e32 v6, v45                                      // 00000000706C: 7E0C032D
	s_mov_b64 s[60:61], 0                                      // 000000007070: BEBC0180
	v_readlane_b32 s82, v3, 2                                  // 000000007074: D2890052 00010503
	s_and_b32 s82, s82, 0xffffff                               // 00000000707C: 8652FF52 00FFFFFF
	s_cmp_lt_u32 s82, s66                                      // 000000007084: BF0A4252
	s_cselect_b32 s20, s36, s60                                // 000000007088: 85143C24
	v_readlane_b32 s82, v3, 3                                  // 00000000708C: D2890052 00010703
	s_and_b32 s82, s82, 0xffffff                               // 000000007094: 8652FF52 00FFFFFF
	s_cmp_lt_u32 s82, s66                                      // 00000000709C: BF0A4252
	s_cselect_b32 s21, s36, s60                                // 0000000070A0: 85153C24
	s_mov_b64 exec, s[20:21]                                   // 0000000070A4: BEFE0114
	global_atomic_add_f32 v6, v59, s[8:9] offset:8             // 0000000070A8: DD348008 00083B06
	global_atomic_add_f32 v6, v63, s[8:9] offset:264           // 0000000070B0: DD348108 00083F06
	global_atomic_add_f32 v6, v67, s[8:9] offset:520           // 0000000070B8: DD348208 00084306
	global_atomic_add_f32 v6, v71, s[8:9] offset:776           // 0000000070C0: DD348308 00084706
	s_mov_b64 exec, s[36:37]                                   // 0000000070C8: BEFE0124
	v_mov_b32_e32 v6, v46                                      // 0000000070CC: 7E0C032E
	s_mov_b64 s[60:61], 0                                      // 0000000070D0: BEBC0180
	v_readlane_b32 s82, v3, 4                                  // 0000000070D4: D2890052 00010903
	s_and_b32 s82, s82, 0xffffff                               // 0000000070DC: 8652FF52 00FFFFFF
	s_cmp_lt_u32 s82, s66                                      // 0000000070E4: BF0A4252
	s_cselect_b32 s20, s36, s60                                // 0000000070E8: 85143C24
	v_readlane_b32 s82, v3, 5                                  // 0000000070EC: D2890052 00010B03
	s_and_b32 s82, s82, 0xffffff                               // 0000000070F4: 8652FF52 00FFFFFF
	s_cmp_lt_u32 s82, s66                                      // 0000000070FC: BF0A4252
	s_cselect_b32 s21, s36, s60                                // 000000007100: 85153C24
	s_mov_b64 exec, s[20:21]                                   // 000000007104: BEFE0114
	global_atomic_add_f32 v6, v74, s[8:9] offset:8             // 000000007108: DD348008 00084A06
	global_atomic_add_f32 v6, v78, s[8:9] offset:264           // 000000007110: DD348108 00084E06
	global_atomic_add_f32 v6, v82, s[8:9] offset:520           // 000000007118: DD348208 00085206
	global_atomic_add_f32 v6, v86, s[8:9] offset:776           // 000000007120: DD348308 00085606
	s_mov_b64 exec, s[36:37]                                   // 000000007128: BEFE0124
	v_mov_b32_e32 v6, v47                                      // 00000000712C: 7E0C032F
	s_mov_b64 s[60:61], 0                                      // 000000007130: BEBC0180
	v_readlane_b32 s82, v3, 6                                  // 000000007134: D2890052 00010D03
	s_and_b32 s82, s82, 0xffffff                               // 00000000713C: 8652FF52 00FFFFFF
	s_cmp_lt_u32 s82, s66                                      // 000000007144: BF0A4252
	s_cselect_b32 s20, s36, s60                                // 000000007148: 85143C24
	v_readlane_b32 s82, v3, 7                                  // 00000000714C: D2890052 00010F03
	s_and_b32 s82, s82, 0xffffff                               // 000000007154: 8652FF52 00FFFFFF
	s_cmp_lt_u32 s82, s66                                      // 00000000715C: BF0A4252
	s_cselect_b32 s21, s36, s60                                // 000000007160: 85153C24
	s_mov_b64 exec, s[20:21]                                   // 000000007164: BEFE0114
	global_atomic_add_f32 v6, v75, s[8:9] offset:8             // 000000007168: DD348008 00084B06
	global_atomic_add_f32 v6, v79, s[8:9] offset:264           // 000000007170: DD348108 00084F06
	global_atomic_add_f32 v6, v83, s[8:9] offset:520           // 000000007178: DD348208 00085306
	global_atomic_add_f32 v6, v87, s[8:9] offset:776           // 000000007180: DD348308 00085706
	s_mov_b64 exec, s[36:37]                                   // 000000007188: BEFE0124
	v_mov_b32_e32 v6, v48                                      // 00000000718C: 7E0C0330
	s_mov_b64 s[60:61], 0                                      // 000000007190: BEBC0180
	v_readlane_b32 s82, v3, 8                                  // 000000007194: D2890052 00011103
	s_and_b32 s82, s82, 0xffffff                               // 00000000719C: 8652FF52 00FFFFFF
	s_cmp_lt_u32 s82, s66                                      // 0000000071A4: BF0A4252
	s_cselect_b32 s20, s36, s60                                // 0000000071A8: 85143C24
	v_readlane_b32 s82, v3, 9                                  // 0000000071AC: D2890052 00011303
	s_and_b32 s82, s82, 0xffffff                               // 0000000071B4: 8652FF52 00FFFFFF
	s_cmp_lt_u32 s82, s66                                      // 0000000071BC: BF0A4252
	s_cselect_b32 s21, s36, s60                                // 0000000071C0: 85153C24
	s_mov_b64 exec, s[20:21]                                   // 0000000071C4: BEFE0114
	global_atomic_add_f32 v6, v90, s[8:9] offset:8             // 0000000071C8: DD348008 00085A06
	global_atomic_add_f32 v6, v94, s[8:9] offset:264           // 0000000071D0: DD348108 00085E06
	global_atomic_add_f32 v6, v98, s[8:9] offset:520           // 0000000071D8: DD348208 00086206
	global_atomic_add_f32 v6, v102, s[8:9] offset:776          // 0000000071E0: DD348308 00086606
	s_mov_b64 exec, s[36:37]                                   // 0000000071E8: BEFE0124
	v_mov_b32_e32 v6, v49                                      // 0000000071EC: 7E0C0331
	s_mov_b64 s[60:61], 0                                      // 0000000071F0: BEBC0180
	v_readlane_b32 s82, v3, 10                                 // 0000000071F4: D2890052 00011503
	s_and_b32 s82, s82, 0xffffff                               // 0000000071FC: 8652FF52 00FFFFFF
	s_cmp_lt_u32 s82, s66                                      // 000000007204: BF0A4252
	s_cselect_b32 s20, s36, s60                                // 000000007208: 85143C24
	v_readlane_b32 s82, v3, 11                                 // 00000000720C: D2890052 00011703
	s_and_b32 s82, s82, 0xffffff                               // 000000007214: 8652FF52 00FFFFFF
	s_cmp_lt_u32 s82, s66                                      // 00000000721C: BF0A4252
	s_cselect_b32 s21, s36, s60                                // 000000007220: 85153C24
	s_mov_b64 exec, s[20:21]                                   // 000000007224: BEFE0114
	global_atomic_add_f32 v6, v91, s[8:9] offset:8             // 000000007228: DD348008 00085B06
	global_atomic_add_f32 v6, v95, s[8:9] offset:264           // 000000007230: DD348108 00085F06
	global_atomic_add_f32 v6, v99, s[8:9] offset:520           // 000000007238: DD348208 00086306
	global_atomic_add_f32 v6, v103, s[8:9] offset:776          // 000000007240: DD348308 00086706
	s_mov_b64 exec, s[36:37]                                   // 000000007248: BEFE0124
	v_mov_b32_e32 v6, v50                                      // 00000000724C: 7E0C0332
	s_mov_b64 s[60:61], 0                                      // 000000007250: BEBC0180
	v_readlane_b32 s82, v3, 12                                 // 000000007254: D2890052 00011903
	s_and_b32 s82, s82, 0xffffff                               // 00000000725C: 8652FF52 00FFFFFF
	s_cmp_lt_u32 s82, s66                                      // 000000007264: BF0A4252
	s_cselect_b32 s20, s36, s60                                // 000000007268: 85143C24
	v_readlane_b32 s82, v3, 13                                 // 00000000726C: D2890052 00011B03
	s_and_b32 s82, s82, 0xffffff                               // 000000007274: 8652FF52 00FFFFFF
	s_cmp_lt_u32 s82, s66                                      // 00000000727C: BF0A4252
	s_cselect_b32 s21, s36, s60                                // 000000007280: 85153C24
	s_mov_b64 exec, s[20:21]                                   // 000000007284: BEFE0114
	global_atomic_add_f32 v6, v106, s[8:9] offset:8            // 000000007288: DD348008 00086A06
	global_atomic_add_f32 v6, v110, s[8:9] offset:264          // 000000007290: DD348108 00086E06
	global_atomic_add_f32 v6, v114, s[8:9] offset:520          // 000000007298: DD348208 00087206
	global_atomic_add_f32 v6, v118, s[8:9] offset:776          // 0000000072A0: DD348308 00087606
	s_mov_b64 exec, s[36:37]                                   // 0000000072A8: BEFE0124
	v_mov_b32_e32 v6, v51                                      // 0000000072AC: 7E0C0333
	s_mov_b64 s[60:61], 0                                      // 0000000072B0: BEBC0180
	v_readlane_b32 s82, v3, 14                                 // 0000000072B4: D2890052 00011D03
	s_and_b32 s82, s82, 0xffffff                               // 0000000072BC: 8652FF52 00FFFFFF
	s_cmp_lt_u32 s82, s66                                      // 0000000072C4: BF0A4252
	s_cselect_b32 s20, s36, s60                                // 0000000072C8: 85143C24
	v_readlane_b32 s82, v3, 15                                 // 0000000072CC: D2890052 00011F03
	s_and_b32 s82, s82, 0xffffff                               // 0000000072D4: 8652FF52 00FFFFFF
	s_cmp_lt_u32 s82, s66                                      // 0000000072DC: BF0A4252
	s_cselect_b32 s21, s36, s60                                // 0000000072E0: 85153C24
	s_mov_b64 exec, s[20:21]                                   // 0000000072E4: BEFE0114
	global_atomic_add_f32 v6, v107, s[8:9] offset:8            // 0000000072E8: DD348008 00086B06
	global_atomic_add_f32 v6, v111, s[8:9] offset:264          // 0000000072F0: DD348108 00086F06
	global_atomic_add_f32 v6, v115, s[8:9] offset:520          // 0000000072F8: DD348208 00087306
	global_atomic_add_f32 v6, v119, s[8:9] offset:776          // 000000007300: DD348308 00087706
	s_mov_b64 exec, s[36:37]                                   // 000000007308: BEFE0124
	ds_write_b64 v20, v[120:121]                               // 00000000730C: D89A0000 00007814
	ds_write_b64 v20, v[124:125] offset:8704                   // 000000007314: D89A2200 00007C14
	ds_write_b64 v20, v[128:129] offset:17408                  // 00000000731C: D89A4400 00008014
	ds_write_b64 v20, v[132:133] offset:26112                  // 000000007324: D89A6600 00008414
	ds_write_b64 v20, v[136:137] offset:2176                   // 00000000732C: D89A0880 00008814
	ds_write_b64 v20, v[140:141] offset:10880                  // 000000007334: D89A2A80 00008C14
	ds_write_b64 v20, v[144:145] offset:19584                  // 00000000733C: D89A4C80 00009014
	ds_write_b64 v20, v[148:149] offset:28288                  // 000000007344: D89A6E80 00009414
	ds_write_b64 v20, v[152:153] offset:4352                   // 00000000734C: D89A1100 00009814
	ds_write_b64 v20, v[156:157] offset:13056                  // 000000007354: D89A3300 00009C14
	ds_write_b64 v20, v[160:161] offset:21760                  // 00000000735C: D89A5500 0000A014
	ds_write_b64 v20, v[164:165] offset:30464                  // 000000007364: D89A7700 0000A414
	ds_write_b64 v20, v[168:169] offset:6528                   // 00000000736C: D89A1980 0000A814
	ds_write_b64 v20, v[172:173] offset:15232                  // 000000007374: D89A3B80 0000AC14
	ds_write_b64 v20, v[176:177] offset:23936                  // 00000000737C: D89A5D80 0000B014
	ds_write_b64 v20, v[180:181] offset:32640                  // 000000007384: D89A7F80 0000B414
	s_waitcnt lgkmcnt(0)                                       // 00000000738C: BF8CC07F
	s_barrier                                                  // 000000007390: BF8A0000
	ds_read_b32 v120, v21                                      // 000000007394: D86C0000 78000015
	ds_read_b32 v121, v21 offset:64                            // 00000000739C: D86C0040 79000015
	ds_read_b32 v124, v21 offset:2176                          // 0000000073A4: D86C0880 7C000015
	ds_read_b32 v125, v21 offset:2240                          // 0000000073AC: D86C08C0 7D000015
	ds_read_b32 v128, v21 offset:4352                          // 0000000073B4: D86C1100 80000015
	ds_read_b32 v129, v21 offset:4416                          // 0000000073BC: D86C1140 81000015
	ds_read_b32 v132, v21 offset:6528                          // 0000000073C4: D86C1980 84000015
	ds_read_b32 v133, v21 offset:6592                          // 0000000073CC: D86C19C0 85000015
	ds_read_b32 v136, v21 offset:8704                          // 0000000073D4: D86C2200 88000015
	ds_read_b32 v137, v21 offset:8768                          // 0000000073DC: D86C2240 89000015
	ds_read_b32 v140, v21 offset:10880                         // 0000000073E4: D86C2A80 8C000015
	ds_read_b32 v141, v21 offset:10944                         // 0000000073EC: D86C2AC0 8D000015
	ds_read_b32 v144, v21 offset:13056                         // 0000000073F4: D86C3300 90000015
	ds_read_b32 v145, v21 offset:13120                         // 0000000073FC: D86C3340 91000015
	ds_read_b32 v148, v21 offset:15232                         // 000000007404: D86C3B80 94000015
	ds_read_b32 v149, v21 offset:15296                         // 00000000740C: D86C3BC0 95000015
	ds_read_b32 v152, v21 offset:17408                         // 000000007414: D86C4400 98000015
	ds_read_b32 v153, v21 offset:17472                         // 00000000741C: D86C4440 99000015
	ds_read_b32 v156, v21 offset:19584                         // 000000007424: D86C4C80 9C000015
	ds_read_b32 v157, v21 offset:19648                         // 00000000742C: D86C4CC0 9D000015
	ds_read_b32 v160, v21 offset:21760                         // 000000007434: D86C5500 A0000015
	ds_read_b32 v161, v21 offset:21824                         // 00000000743C: D86C5540 A1000015
	ds_read_b32 v164, v21 offset:23936                         // 000000007444: D86C5D80 A4000015
	ds_read_b32 v165, v21 offset:24000                         // 00000000744C: D86C5DC0 A5000015
	ds_read_b32 v168, v21 offset:26112                         // 000000007454: D86C6600 A8000015
	ds_read_b32 v169, v21 offset:26176                         // 00000000745C: D86C6640 A9000015
	ds_read_b32 v172, v21 offset:28288                         // 000000007464: D86C6E80 AC000015
	ds_read_b32 v173, v21 offset:28352                         // 00000000746C: D86C6EC0 AD000015
	ds_read_b32 v176, v21 offset:30464                         // 000000007474: D86C7700 B0000015
	ds_read_b32 v177, v21 offset:30528                         // 00000000747C: D86C7740 B1000015
	ds_read_b32 v180, v21 offset:32640                         // 000000007484: D86C7F80 B4000015
	ds_read_b32 v181, v21 offset:32704                         // 00000000748C: D86C7FC0 B5000015
	s_mul_i32 s60, s65, 4                                      // 000000007494: 923C8441
	s_add_u32 s8, s60, s8                                      // 000000007498: 8008083C
	s_addc_u32 s9, 0, s9                                       // 00000000749C: 82090980
	s_waitcnt lgkmcnt(0)                                       // 0000000074A0: BF8CC07F
	v_mov_b32_e32 v7, 0                                        // 0000000074A4: 7E0E0280
	s_mov_b64 exec, s[36:37]                                   // 0000000074A8: BEFE0124
	v_mov_b32_e32 v6, v44                                      // 0000000074AC: 7E0C032C
	s_mov_b64 s[60:61], 0                                      // 0000000074B0: BEBC0180
	v_readlane_b32 s82, v3, 0                                  // 0000000074B4: D2890052 00010103
	s_and_b32 s82, s82, 0xffffff                               // 0000000074BC: 8652FF52 00FFFFFF
	s_cmp_lt_u32 s82, s66                                      // 0000000074C4: BF0A4252
	s_cselect_b32 s20, s36, s60                                // 0000000074C8: 85143C24
	v_readlane_b32 s82, v3, 1                                  // 0000000074CC: D2890052 00010303
	s_and_b32 s82, s82, 0xffffff                               // 0000000074D4: 8652FF52 00FFFFFF
	s_cmp_lt_u32 s82, s66                                      // 0000000074DC: BF0A4252
	s_cselect_b32 s21, s36, s60                                // 0000000074E0: 85153C24
	s_mov_b64 exec, s[20:21]                                   // 0000000074E4: BEFE0114
	global_atomic_add_f32 v6, v120, s[8:9]                     // 0000000074E8: DD348000 00087806
	global_atomic_add_f32 v6, v124, s[8:9] offset:256          // 0000000074F0: DD348100 00087C06
	global_atomic_add_f32 v6, v128, s[8:9] offset:512          // 0000000074F8: DD348200 00088006
	global_atomic_add_f32 v6, v132, s[8:9] offset:768          // 000000007500: DD348300 00088406
	s_mov_b64 exec, s[36:37]                                   // 000000007508: BEFE0124
	v_mov_b32_e32 v6, v45                                      // 00000000750C: 7E0C032D
	s_mov_b64 s[60:61], 0                                      // 000000007510: BEBC0180
	v_readlane_b32 s82, v3, 2                                  // 000000007514: D2890052 00010503
	s_and_b32 s82, s82, 0xffffff                               // 00000000751C: 8652FF52 00FFFFFF
	s_cmp_lt_u32 s82, s66                                      // 000000007524: BF0A4252
	s_cselect_b32 s20, s36, s60                                // 000000007528: 85143C24
	v_readlane_b32 s82, v3, 3                                  // 00000000752C: D2890052 00010703
	s_and_b32 s82, s82, 0xffffff                               // 000000007534: 8652FF52 00FFFFFF
	s_cmp_lt_u32 s82, s66                                      // 00000000753C: BF0A4252
	s_cselect_b32 s21, s36, s60                                // 000000007540: 85153C24
	s_mov_b64 exec, s[20:21]                                   // 000000007544: BEFE0114
	global_atomic_add_f32 v6, v121, s[8:9]                     // 000000007548: DD348000 00087906
	global_atomic_add_f32 v6, v125, s[8:9] offset:256          // 000000007550: DD348100 00087D06
	global_atomic_add_f32 v6, v129, s[8:9] offset:512          // 000000007558: DD348200 00088106
	global_atomic_add_f32 v6, v133, s[8:9] offset:768          // 000000007560: DD348300 00088506
	s_mov_b64 exec, s[36:37]                                   // 000000007568: BEFE0124
	v_mov_b32_e32 v6, v46                                      // 00000000756C: 7E0C032E
	s_mov_b64 s[60:61], 0                                      // 000000007570: BEBC0180
	v_readlane_b32 s82, v3, 4                                  // 000000007574: D2890052 00010903
	s_and_b32 s82, s82, 0xffffff                               // 00000000757C: 8652FF52 00FFFFFF
	s_cmp_lt_u32 s82, s66                                      // 000000007584: BF0A4252
	s_cselect_b32 s20, s36, s60                                // 000000007588: 85143C24
	v_readlane_b32 s82, v3, 5                                  // 00000000758C: D2890052 00010B03
	s_and_b32 s82, s82, 0xffffff                               // 000000007594: 8652FF52 00FFFFFF
	s_cmp_lt_u32 s82, s66                                      // 00000000759C: BF0A4252
	s_cselect_b32 s21, s36, s60                                // 0000000075A0: 85153C24
	s_mov_b64 exec, s[20:21]                                   // 0000000075A4: BEFE0114
	global_atomic_add_f32 v6, v136, s[8:9]                     // 0000000075A8: DD348000 00088806
	global_atomic_add_f32 v6, v140, s[8:9] offset:256          // 0000000075B0: DD348100 00088C06
	global_atomic_add_f32 v6, v144, s[8:9] offset:512          // 0000000075B8: DD348200 00089006
	global_atomic_add_f32 v6, v148, s[8:9] offset:768          // 0000000075C0: DD348300 00089406
	s_mov_b64 exec, s[36:37]                                   // 0000000075C8: BEFE0124
	v_mov_b32_e32 v6, v47                                      // 0000000075CC: 7E0C032F
	s_mov_b64 s[60:61], 0                                      // 0000000075D0: BEBC0180
	v_readlane_b32 s82, v3, 6                                  // 0000000075D4: D2890052 00010D03
	s_and_b32 s82, s82, 0xffffff                               // 0000000075DC: 8652FF52 00FFFFFF
	s_cmp_lt_u32 s82, s66                                      // 0000000075E4: BF0A4252
	s_cselect_b32 s20, s36, s60                                // 0000000075E8: 85143C24
	v_readlane_b32 s82, v3, 7                                  // 0000000075EC: D2890052 00010F03
	s_and_b32 s82, s82, 0xffffff                               // 0000000075F4: 8652FF52 00FFFFFF
	s_cmp_lt_u32 s82, s66                                      // 0000000075FC: BF0A4252
	s_cselect_b32 s21, s36, s60                                // 000000007600: 85153C24
	s_mov_b64 exec, s[20:21]                                   // 000000007604: BEFE0114
	global_atomic_add_f32 v6, v137, s[8:9]                     // 000000007608: DD348000 00088906
	global_atomic_add_f32 v6, v141, s[8:9] offset:256          // 000000007610: DD348100 00088D06
	global_atomic_add_f32 v6, v145, s[8:9] offset:512          // 000000007618: DD348200 00089106
	global_atomic_add_f32 v6, v149, s[8:9] offset:768          // 000000007620: DD348300 00089506
	s_mov_b64 exec, s[36:37]                                   // 000000007628: BEFE0124
	v_mov_b32_e32 v6, v48                                      // 00000000762C: 7E0C0330
	s_mov_b64 s[60:61], 0                                      // 000000007630: BEBC0180
	v_readlane_b32 s82, v3, 8                                  // 000000007634: D2890052 00011103
	s_and_b32 s82, s82, 0xffffff                               // 00000000763C: 8652FF52 00FFFFFF
	s_cmp_lt_u32 s82, s66                                      // 000000007644: BF0A4252
	s_cselect_b32 s20, s36, s60                                // 000000007648: 85143C24
	v_readlane_b32 s82, v3, 9                                  // 00000000764C: D2890052 00011303
	s_and_b32 s82, s82, 0xffffff                               // 000000007654: 8652FF52 00FFFFFF
	s_cmp_lt_u32 s82, s66                                      // 00000000765C: BF0A4252
	s_cselect_b32 s21, s36, s60                                // 000000007660: 85153C24
	s_mov_b64 exec, s[20:21]                                   // 000000007664: BEFE0114
	global_atomic_add_f32 v6, v152, s[8:9]                     // 000000007668: DD348000 00089806
	global_atomic_add_f32 v6, v156, s[8:9] offset:256          // 000000007670: DD348100 00089C06
	global_atomic_add_f32 v6, v160, s[8:9] offset:512          // 000000007678: DD348200 0008A006
	global_atomic_add_f32 v6, v164, s[8:9] offset:768          // 000000007680: DD348300 0008A406
	s_mov_b64 exec, s[36:37]                                   // 000000007688: BEFE0124
	v_mov_b32_e32 v6, v49                                      // 00000000768C: 7E0C0331
	s_mov_b64 s[60:61], 0                                      // 000000007690: BEBC0180
	v_readlane_b32 s82, v3, 10                                 // 000000007694: D2890052 00011503
	s_and_b32 s82, s82, 0xffffff                               // 00000000769C: 8652FF52 00FFFFFF
	s_cmp_lt_u32 s82, s66                                      // 0000000076A4: BF0A4252
	s_cselect_b32 s20, s36, s60                                // 0000000076A8: 85143C24
	v_readlane_b32 s82, v3, 11                                 // 0000000076AC: D2890052 00011703
	s_and_b32 s82, s82, 0xffffff                               // 0000000076B4: 8652FF52 00FFFFFF
	s_cmp_lt_u32 s82, s66                                      // 0000000076BC: BF0A4252
	s_cselect_b32 s21, s36, s60                                // 0000000076C0: 85153C24
	s_mov_b64 exec, s[20:21]                                   // 0000000076C4: BEFE0114
	global_atomic_add_f32 v6, v153, s[8:9]                     // 0000000076C8: DD348000 00089906
	global_atomic_add_f32 v6, v157, s[8:9] offset:256          // 0000000076D0: DD348100 00089D06
	global_atomic_add_f32 v6, v161, s[8:9] offset:512          // 0000000076D8: DD348200 0008A106
	global_atomic_add_f32 v6, v165, s[8:9] offset:768          // 0000000076E0: DD348300 0008A506
	s_mov_b64 exec, s[36:37]                                   // 0000000076E8: BEFE0124
	v_mov_b32_e32 v6, v50                                      // 0000000076EC: 7E0C0332
	s_mov_b64 s[60:61], 0                                      // 0000000076F0: BEBC0180
	v_readlane_b32 s82, v3, 12                                 // 0000000076F4: D2890052 00011903
	s_and_b32 s82, s82, 0xffffff                               // 0000000076FC: 8652FF52 00FFFFFF
	s_cmp_lt_u32 s82, s66                                      // 000000007704: BF0A4252
	s_cselect_b32 s20, s36, s60                                // 000000007708: 85143C24
	v_readlane_b32 s82, v3, 13                                 // 00000000770C: D2890052 00011B03
	s_and_b32 s82, s82, 0xffffff                               // 000000007714: 8652FF52 00FFFFFF
	s_cmp_lt_u32 s82, s66                                      // 00000000771C: BF0A4252
	s_cselect_b32 s21, s36, s60                                // 000000007720: 85153C24
	s_mov_b64 exec, s[20:21]                                   // 000000007724: BEFE0114
	global_atomic_add_f32 v6, v168, s[8:9]                     // 000000007728: DD348000 0008A806
	global_atomic_add_f32 v6, v172, s[8:9] offset:256          // 000000007730: DD348100 0008AC06
	global_atomic_add_f32 v6, v176, s[8:9] offset:512          // 000000007738: DD348200 0008B006
	global_atomic_add_f32 v6, v180, s[8:9] offset:768          // 000000007740: DD348300 0008B406
	s_mov_b64 exec, s[36:37]                                   // 000000007748: BEFE0124
	v_mov_b32_e32 v6, v51                                      // 00000000774C: 7E0C0333
	s_mov_b64 s[60:61], 0                                      // 000000007750: BEBC0180
	v_readlane_b32 s82, v3, 14                                 // 000000007754: D2890052 00011D03
	s_and_b32 s82, s82, 0xffffff                               // 00000000775C: 8652FF52 00FFFFFF
	s_cmp_lt_u32 s82, s66                                      // 000000007764: BF0A4252
	s_cselect_b32 s20, s36, s60                                // 000000007768: 85143C24
	v_readlane_b32 s82, v3, 15                                 // 00000000776C: D2890052 00011F03
	s_and_b32 s82, s82, 0xffffff                               // 000000007774: 8652FF52 00FFFFFF
	s_cmp_lt_u32 s82, s66                                      // 00000000777C: BF0A4252
	s_cselect_b32 s21, s36, s60                                // 000000007780: 85153C24
	s_mov_b64 exec, s[20:21]                                   // 000000007784: BEFE0114
	global_atomic_add_f32 v6, v169, s[8:9]                     // 000000007788: DD348000 0008A906
	global_atomic_add_f32 v6, v173, s[8:9] offset:256          // 000000007790: DD348100 0008AD06
	global_atomic_add_f32 v6, v177, s[8:9] offset:512          // 000000007798: DD348200 0008B106
	global_atomic_add_f32 v6, v181, s[8:9] offset:768          // 0000000077A0: DD348300 0008B506
	s_mov_b64 exec, s[36:37]                                   // 0000000077A8: BEFE0124
	ds_write_b64 v20, v[122:123]                               // 0000000077AC: D89A0000 00007A14
	ds_write_b64 v20, v[126:127] offset:8704                   // 0000000077B4: D89A2200 00007E14
	ds_write_b64 v20, v[130:131] offset:17408                  // 0000000077BC: D89A4400 00008214
	ds_write_b64 v20, v[134:135] offset:26112                  // 0000000077C4: D89A6600 00008614
	ds_write_b64 v20, v[138:139] offset:2176                   // 0000000077CC: D89A0880 00008A14
	ds_write_b64 v20, v[142:143] offset:10880                  // 0000000077D4: D89A2A80 00008E14
	ds_write_b64 v20, v[146:147] offset:19584                  // 0000000077DC: D89A4C80 00009214
	ds_write_b64 v20, v[150:151] offset:28288                  // 0000000077E4: D89A6E80 00009614
	ds_write_b64 v20, v[154:155] offset:4352                   // 0000000077EC: D89A1100 00009A14
	ds_write_b64 v20, v[158:159] offset:13056                  // 0000000077F4: D89A3300 00009E14
	ds_write_b64 v20, v[162:163] offset:21760                  // 0000000077FC: D89A5500 0000A214
	ds_write_b64 v20, v[166:167] offset:30464                  // 000000007804: D89A7700 0000A614
	ds_write_b64 v20, v[170:171] offset:6528                   // 00000000780C: D89A1980 0000AA14
	ds_write_b64 v20, v[174:175] offset:15232                  // 000000007814: D89A3B80 0000AE14
	ds_write_b64 v20, v[178:179] offset:23936                  // 00000000781C: D89A5D80 0000B214
	ds_write_b64 v20, v[182:183] offset:32640                  // 000000007824: D89A7F80 0000B614
	s_waitcnt lgkmcnt(0)                                       // 00000000782C: BF8CC07F
	s_barrier                                                  // 000000007830: BF8A0000
	ds_read_b32 v122, v21                                      // 000000007834: D86C0000 7A000015
	ds_read_b32 v123, v21 offset:64                            // 00000000783C: D86C0040 7B000015
	ds_read_b32 v126, v21 offset:2176                          // 000000007844: D86C0880 7E000015
	ds_read_b32 v127, v21 offset:2240                          // 00000000784C: D86C08C0 7F000015
	ds_read_b32 v130, v21 offset:4352                          // 000000007854: D86C1100 82000015
	ds_read_b32 v131, v21 offset:4416                          // 00000000785C: D86C1140 83000015
	ds_read_b32 v134, v21 offset:6528                          // 000000007864: D86C1980 86000015
	ds_read_b32 v135, v21 offset:6592                          // 00000000786C: D86C19C0 87000015
	ds_read_b32 v138, v21 offset:8704                          // 000000007874: D86C2200 8A000015
	ds_read_b32 v139, v21 offset:8768                          // 00000000787C: D86C2240 8B000015
	ds_read_b32 v142, v21 offset:10880                         // 000000007884: D86C2A80 8E000015
	ds_read_b32 v143, v21 offset:10944                         // 00000000788C: D86C2AC0 8F000015
	ds_read_b32 v146, v21 offset:13056                         // 000000007894: D86C3300 92000015
	ds_read_b32 v147, v21 offset:13120                         // 00000000789C: D86C3340 93000015
	ds_read_b32 v150, v21 offset:15232                         // 0000000078A4: D86C3B80 96000015
	ds_read_b32 v151, v21 offset:15296                         // 0000000078AC: D86C3BC0 97000015
	ds_read_b32 v154, v21 offset:17408                         // 0000000078B4: D86C4400 9A000015
	ds_read_b32 v155, v21 offset:17472                         // 0000000078BC: D86C4440 9B000015
	ds_read_b32 v158, v21 offset:19584                         // 0000000078C4: D86C4C80 9E000015
	ds_read_b32 v159, v21 offset:19648                         // 0000000078CC: D86C4CC0 9F000015
	ds_read_b32 v162, v21 offset:21760                         // 0000000078D4: D86C5500 A2000015
	ds_read_b32 v163, v21 offset:21824                         // 0000000078DC: D86C5540 A3000015
	ds_read_b32 v166, v21 offset:23936                         // 0000000078E4: D86C5D80 A6000015
	ds_read_b32 v167, v21 offset:24000                         // 0000000078EC: D86C5DC0 A7000015
	ds_read_b32 v170, v21 offset:26112                         // 0000000078F4: D86C6600 AA000015
	ds_read_b32 v171, v21 offset:26176                         // 0000000078FC: D86C6640 AB000015
	ds_read_b32 v174, v21 offset:28288                         // 000000007904: D86C6E80 AE000015
	ds_read_b32 v175, v21 offset:28352                         // 00000000790C: D86C6EC0 AF000015
	ds_read_b32 v178, v21 offset:30464                         // 000000007914: D86C7700 B2000015
	ds_read_b32 v179, v21 offset:30528                         // 00000000791C: D86C7740 B3000015
	ds_read_b32 v182, v21 offset:32640                         // 000000007924: D86C7F80 B6000015
	ds_read_b32 v183, v21 offset:32704                         // 00000000792C: D86C7FC0 B7000015
	s_waitcnt lgkmcnt(0)                                       // 000000007934: BF8CC07F
	v_mov_b32_e32 v7, 0                                        // 000000007938: 7E0E0280
	s_mov_b64 exec, s[36:37]                                   // 00000000793C: BEFE0124
	v_mov_b32_e32 v6, v44                                      // 000000007940: 7E0C032C
	s_mov_b64 s[60:61], 0                                      // 000000007944: BEBC0180
	v_readlane_b32 s82, v3, 0                                  // 000000007948: D2890052 00010103
	s_and_b32 s82, s82, 0xffffff                               // 000000007950: 8652FF52 00FFFFFF
	s_cmp_lt_u32 s82, s66                                      // 000000007958: BF0A4252
	s_cselect_b32 s20, s36, s60                                // 00000000795C: 85143C24
	v_readlane_b32 s82, v3, 1                                  // 000000007960: D2890052 00010303
	s_and_b32 s82, s82, 0xffffff                               // 000000007968: 8652FF52 00FFFFFF
	s_cmp_lt_u32 s82, s66                                      // 000000007970: BF0A4252
	s_cselect_b32 s21, s36, s60                                // 000000007974: 85153C24
	s_mov_b64 exec, s[20:21]                                   // 000000007978: BEFE0114
	global_atomic_add_f32 v6, v122, s[8:9] offset:8            // 00000000797C: DD348008 00087A06
	global_atomic_add_f32 v6, v126, s[8:9] offset:264          // 000000007984: DD348108 00087E06
	global_atomic_add_f32 v6, v130, s[8:9] offset:520          // 00000000798C: DD348208 00088206
	global_atomic_add_f32 v6, v134, s[8:9] offset:776          // 000000007994: DD348308 00088606
	s_mov_b64 exec, s[36:37]                                   // 00000000799C: BEFE0124
	v_mov_b32_e32 v6, v45                                      // 0000000079A0: 7E0C032D
	s_mov_b64 s[60:61], 0                                      // 0000000079A4: BEBC0180
	v_readlane_b32 s82, v3, 2                                  // 0000000079A8: D2890052 00010503
	s_and_b32 s82, s82, 0xffffff                               // 0000000079B0: 8652FF52 00FFFFFF
	s_cmp_lt_u32 s82, s66                                      // 0000000079B8: BF0A4252
	s_cselect_b32 s20, s36, s60                                // 0000000079BC: 85143C24
	v_readlane_b32 s82, v3, 3                                  // 0000000079C0: D2890052 00010703
	s_and_b32 s82, s82, 0xffffff                               // 0000000079C8: 8652FF52 00FFFFFF
	s_cmp_lt_u32 s82, s66                                      // 0000000079D0: BF0A4252
	s_cselect_b32 s21, s36, s60                                // 0000000079D4: 85153C24
	s_mov_b64 exec, s[20:21]                                   // 0000000079D8: BEFE0114
	global_atomic_add_f32 v6, v123, s[8:9] offset:8            // 0000000079DC: DD348008 00087B06
	global_atomic_add_f32 v6, v127, s[8:9] offset:264          // 0000000079E4: DD348108 00087F06
	global_atomic_add_f32 v6, v131, s[8:9] offset:520          // 0000000079EC: DD348208 00088306
	global_atomic_add_f32 v6, v135, s[8:9] offset:776          // 0000000079F4: DD348308 00088706
	s_mov_b64 exec, s[36:37]                                   // 0000000079FC: BEFE0124
	v_mov_b32_e32 v6, v46                                      // 000000007A00: 7E0C032E
	s_mov_b64 s[60:61], 0                                      // 000000007A04: BEBC0180
	v_readlane_b32 s82, v3, 4                                  // 000000007A08: D2890052 00010903
	s_and_b32 s82, s82, 0xffffff                               // 000000007A10: 8652FF52 00FFFFFF
	s_cmp_lt_u32 s82, s66                                      // 000000007A18: BF0A4252
	s_cselect_b32 s20, s36, s60                                // 000000007A1C: 85143C24
	v_readlane_b32 s82, v3, 5                                  // 000000007A20: D2890052 00010B03
	s_and_b32 s82, s82, 0xffffff                               // 000000007A28: 8652FF52 00FFFFFF
	s_cmp_lt_u32 s82, s66                                      // 000000007A30: BF0A4252
	s_cselect_b32 s21, s36, s60                                // 000000007A34: 85153C24
	s_mov_b64 exec, s[20:21]                                   // 000000007A38: BEFE0114
	global_atomic_add_f32 v6, v138, s[8:9] offset:8            // 000000007A3C: DD348008 00088A06
	global_atomic_add_f32 v6, v142, s[8:9] offset:264          // 000000007A44: DD348108 00088E06
	global_atomic_add_f32 v6, v146, s[8:9] offset:520          // 000000007A4C: DD348208 00089206
	global_atomic_add_f32 v6, v150, s[8:9] offset:776          // 000000007A54: DD348308 00089606
	s_mov_b64 exec, s[36:37]                                   // 000000007A5C: BEFE0124
	v_mov_b32_e32 v6, v47                                      // 000000007A60: 7E0C032F
	s_mov_b64 s[60:61], 0                                      // 000000007A64: BEBC0180
	v_readlane_b32 s82, v3, 6                                  // 000000007A68: D2890052 00010D03
	s_and_b32 s82, s82, 0xffffff                               // 000000007A70: 8652FF52 00FFFFFF
	s_cmp_lt_u32 s82, s66                                      // 000000007A78: BF0A4252
	s_cselect_b32 s20, s36, s60                                // 000000007A7C: 85143C24
	v_readlane_b32 s82, v3, 7                                  // 000000007A80: D2890052 00010F03
	s_and_b32 s82, s82, 0xffffff                               // 000000007A88: 8652FF52 00FFFFFF
	s_cmp_lt_u32 s82, s66                                      // 000000007A90: BF0A4252
	s_cselect_b32 s21, s36, s60                                // 000000007A94: 85153C24
	s_mov_b64 exec, s[20:21]                                   // 000000007A98: BEFE0114
	global_atomic_add_f32 v6, v139, s[8:9] offset:8            // 000000007A9C: DD348008 00088B06
	global_atomic_add_f32 v6, v143, s[8:9] offset:264          // 000000007AA4: DD348108 00088F06
	global_atomic_add_f32 v6, v147, s[8:9] offset:520          // 000000007AAC: DD348208 00089306
	global_atomic_add_f32 v6, v151, s[8:9] offset:776          // 000000007AB4: DD348308 00089706
	s_mov_b64 exec, s[36:37]                                   // 000000007ABC: BEFE0124
	v_mov_b32_e32 v6, v48                                      // 000000007AC0: 7E0C0330
	s_mov_b64 s[60:61], 0                                      // 000000007AC4: BEBC0180
	v_readlane_b32 s82, v3, 8                                  // 000000007AC8: D2890052 00011103
	s_and_b32 s82, s82, 0xffffff                               // 000000007AD0: 8652FF52 00FFFFFF
	s_cmp_lt_u32 s82, s66                                      // 000000007AD8: BF0A4252
	s_cselect_b32 s20, s36, s60                                // 000000007ADC: 85143C24
	v_readlane_b32 s82, v3, 9                                  // 000000007AE0: D2890052 00011303
	s_and_b32 s82, s82, 0xffffff                               // 000000007AE8: 8652FF52 00FFFFFF
	s_cmp_lt_u32 s82, s66                                      // 000000007AF0: BF0A4252
	s_cselect_b32 s21, s36, s60                                // 000000007AF4: 85153C24
	s_mov_b64 exec, s[20:21]                                   // 000000007AF8: BEFE0114
	global_atomic_add_f32 v6, v154, s[8:9] offset:8            // 000000007AFC: DD348008 00089A06
	global_atomic_add_f32 v6, v158, s[8:9] offset:264          // 000000007B04: DD348108 00089E06
	global_atomic_add_f32 v6, v162, s[8:9] offset:520          // 000000007B0C: DD348208 0008A206
	global_atomic_add_f32 v6, v166, s[8:9] offset:776          // 000000007B14: DD348308 0008A606
	s_mov_b64 exec, s[36:37]                                   // 000000007B1C: BEFE0124
	v_mov_b32_e32 v6, v49                                      // 000000007B20: 7E0C0331
	s_mov_b64 s[60:61], 0                                      // 000000007B24: BEBC0180
	v_readlane_b32 s82, v3, 10                                 // 000000007B28: D2890052 00011503
	s_and_b32 s82, s82, 0xffffff                               // 000000007B30: 8652FF52 00FFFFFF
	s_cmp_lt_u32 s82, s66                                      // 000000007B38: BF0A4252
	s_cselect_b32 s20, s36, s60                                // 000000007B3C: 85143C24
	v_readlane_b32 s82, v3, 11                                 // 000000007B40: D2890052 00011703
	s_and_b32 s82, s82, 0xffffff                               // 000000007B48: 8652FF52 00FFFFFF
	s_cmp_lt_u32 s82, s66                                      // 000000007B50: BF0A4252
	s_cselect_b32 s21, s36, s60                                // 000000007B54: 85153C24
	s_mov_b64 exec, s[20:21]                                   // 000000007B58: BEFE0114
	global_atomic_add_f32 v6, v155, s[8:9] offset:8            // 000000007B5C: DD348008 00089B06
	global_atomic_add_f32 v6, v159, s[8:9] offset:264          // 000000007B64: DD348108 00089F06
	global_atomic_add_f32 v6, v163, s[8:9] offset:520          // 000000007B6C: DD348208 0008A306
	global_atomic_add_f32 v6, v167, s[8:9] offset:776          // 000000007B74: DD348308 0008A706
	s_mov_b64 exec, s[36:37]                                   // 000000007B7C: BEFE0124
	v_mov_b32_e32 v6, v50                                      // 000000007B80: 7E0C0332
	s_mov_b64 s[60:61], 0                                      // 000000007B84: BEBC0180
	v_readlane_b32 s82, v3, 12                                 // 000000007B88: D2890052 00011903
	s_and_b32 s82, s82, 0xffffff                               // 000000007B90: 8652FF52 00FFFFFF
	s_cmp_lt_u32 s82, s66                                      // 000000007B98: BF0A4252
	s_cselect_b32 s20, s36, s60                                // 000000007B9C: 85143C24
	v_readlane_b32 s82, v3, 13                                 // 000000007BA0: D2890052 00011B03
	s_and_b32 s82, s82, 0xffffff                               // 000000007BA8: 8652FF52 00FFFFFF
	s_cmp_lt_u32 s82, s66                                      // 000000007BB0: BF0A4252
	s_cselect_b32 s21, s36, s60                                // 000000007BB4: 85153C24
	s_mov_b64 exec, s[20:21]                                   // 000000007BB8: BEFE0114
	global_atomic_add_f32 v6, v170, s[8:9] offset:8            // 000000007BBC: DD348008 0008AA06
	global_atomic_add_f32 v6, v174, s[8:9] offset:264          // 000000007BC4: DD348108 0008AE06
	global_atomic_add_f32 v6, v178, s[8:9] offset:520          // 000000007BCC: DD348208 0008B206
	global_atomic_add_f32 v6, v182, s[8:9] offset:776          // 000000007BD4: DD348308 0008B606
	s_mov_b64 exec, s[36:37]                                   // 000000007BDC: BEFE0124
	v_mov_b32_e32 v6, v51                                      // 000000007BE0: 7E0C0333
	s_mov_b64 s[60:61], 0                                      // 000000007BE4: BEBC0180
	v_readlane_b32 s82, v3, 14                                 // 000000007BE8: D2890052 00011D03
	s_and_b32 s82, s82, 0xffffff                               // 000000007BF0: 8652FF52 00FFFFFF
	s_cmp_lt_u32 s82, s66                                      // 000000007BF8: BF0A4252
	s_cselect_b32 s20, s36, s60                                // 000000007BFC: 85143C24
	v_readlane_b32 s82, v3, 15                                 // 000000007C00: D2890052 00011F03
	s_and_b32 s82, s82, 0xffffff                               // 000000007C08: 8652FF52 00FFFFFF
	s_cmp_lt_u32 s82, s66                                      // 000000007C10: BF0A4252
	s_cselect_b32 s21, s36, s60                                // 000000007C14: 85153C24
	s_mov_b64 exec, s[20:21]                                   // 000000007C18: BEFE0114
	global_atomic_add_f32 v6, v171, s[8:9] offset:8            // 000000007C1C: DD348008 0008AB06
	global_atomic_add_f32 v6, v175, s[8:9] offset:264          // 000000007C24: DD348108 0008AF06
	global_atomic_add_f32 v6, v179, s[8:9] offset:520          // 000000007C2C: DD348208 0008B306
	global_atomic_add_f32 v6, v183, s[8:9] offset:776          // 000000007C34: DD348308 0008B706
	s_mov_b64 exec, s[36:37]                                   // 000000007C3C: BEFE0124
	s_branch label_267E                                        // 000000007C40: BF8211EA

0000000000007c44 <label_1494>:
	s_waitcnt vmcnt(6) lgkmcnt(0)                              // 000000007C44: BF8C0076
	s_barrier                                                  // 000000007C48: BF8A0000
	v_mfma_f32_16x16x32_fp8_fp8 v[56:59], a[64:65], a[0:1], v[56:59]// 000000007C4C: D3F30038 1CE20140
	buffer_load_dwordx4 a[96:99], v52, s[84:87], 0 offen       // 000000007C54: E05C1000 80956034
	v_mfma_f32_16x16x32_fp8_fp8 v[56:59], a[66:67], a[2:3], v[56:59]// 000000007C5C: D3F30038 1CE20542
	v_mfma_f32_16x16x32_fp8_fp8 v[56:59], a[68:69], a[4:5], v[56:59]// 000000007C64: D3F30038 1CE20944
	v_mfma_f32_16x16x32_fp8_fp8 v[56:59], a[70:71], a[6:7], v[56:59]// 000000007C6C: D3F30038 1CE20D46
	v_mfma_f32_16x16x32_fp8_fp8 v[60:63], a[64:65], a[8:9], v[60:63]// 000000007C74: D3F3003C 1CF21140
	buffer_load_dwordx4 a[100:103], v52, s[84:87], 0 offen offset:1024// 000000007C7C: E05C1400 80956434
	v_mfma_f32_16x16x32_fp8_fp8 v[60:63], a[66:67], a[10:11], v[60:63]// 000000007C84: D3F3003C 1CF21542
	v_mfma_f32_16x16x32_fp8_fp8 v[60:63], a[68:69], a[12:13], v[60:63]// 000000007C8C: D3F3003C 1CF21944
	v_mfma_f32_16x16x32_fp8_fp8 v[60:63], a[70:71], a[14:15], v[60:63]// 000000007C94: D3F3003C 1CF21D46
	v_mfma_f32_16x16x32_fp8_fp8 v[64:67], a[64:65], a[16:17], v[64:67]// 000000007C9C: D3F30040 1D022140
	buffer_load_dwordx4 a[104:107], v53, s[84:87], 0 offen     // 000000007CA4: E05C1000 80956835
	v_mfma_f32_16x16x32_fp8_fp8 v[64:67], a[66:67], a[18:19], v[64:67]// 000000007CAC: D3F30040 1D022542
	v_mfma_f32_16x16x32_fp8_fp8 v[64:67], a[68:69], a[20:21], v[64:67]// 000000007CB4: D3F30040 1D022944
	v_mfma_f32_16x16x32_fp8_fp8 v[64:67], a[70:71], a[22:23], v[64:67]// 000000007CBC: D3F30040 1D022D46
	v_mfma_f32_16x16x32_fp8_fp8 v[68:71], a[64:65], a[24:25], v[68:71]// 000000007CC4: D3F30044 1D123140
	buffer_load_dwordx4 a[108:111], v53, s[84:87], 0 offen offset:1024// 000000007CCC: E05C1400 80956C35
	v_mfma_f32_16x16x32_fp8_fp8 v[68:71], a[66:67], a[26:27], v[68:71]// 000000007CD4: D3F30044 1D123542
	v_mfma_f32_16x16x32_fp8_fp8 v[68:71], a[68:69], a[28:29], v[68:71]// 000000007CDC: D3F30044 1D123944
	v_mfma_f32_16x16x32_fp8_fp8 v[68:71], a[70:71], a[30:31], v[68:71]// 000000007CE4: D3F30044 1D123D46
	s_waitcnt vmcnt(8)                                         // 000000007CEC: BF8C0F78
	v_mfma_f32_16x16x32_fp8_fp8 v[72:75], a[72:73], a[0:1], v[72:75]// 000000007CF0: D3F30048 1D220148
	buffer_load_dwordx4 a[112:115], v54, s[84:87], 0 offen     // 000000007CF8: E05C1000 80957036
	v_mfma_f32_16x16x32_fp8_fp8 v[72:75], a[74:75], a[2:3], v[72:75]// 000000007D00: D3F30048 1D22054A
	v_mfma_f32_16x16x32_fp8_fp8 v[72:75], a[76:77], a[4:5], v[72:75]// 000000007D08: D3F30048 1D22094C
	v_mfma_f32_16x16x32_fp8_fp8 v[72:75], a[78:79], a[6:7], v[72:75]// 000000007D10: D3F30048 1D220D4E
	v_mfma_f32_16x16x32_fp8_fp8 v[76:79], a[72:73], a[8:9], v[76:79]// 000000007D18: D3F3004C 1D321148
	buffer_load_dwordx4 a[116:119], v54, s[84:87], 0 offen offset:1024// 000000007D20: E05C1400 80957436
	v_mfma_f32_16x16x32_fp8_fp8 v[76:79], a[74:75], a[10:11], v[76:79]// 000000007D28: D3F3004C 1D32154A
	v_mfma_f32_16x16x32_fp8_fp8 v[76:79], a[76:77], a[12:13], v[76:79]// 000000007D30: D3F3004C 1D32194C
	v_mfma_f32_16x16x32_fp8_fp8 v[76:79], a[78:79], a[14:15], v[76:79]// 000000007D38: D3F3004C 1D321D4E
	v_mfma_f32_16x16x32_fp8_fp8 v[80:83], a[72:73], a[16:17], v[80:83]// 000000007D40: D3F30050 1D422148
	buffer_load_dwordx4 a[120:123], v55, s[84:87], 0 offen     // 000000007D48: E05C1000 80957837
	v_mfma_f32_16x16x32_fp8_fp8 v[80:83], a[74:75], a[18:19], v[80:83]// 000000007D50: D3F30050 1D42254A
	v_mfma_f32_16x16x32_fp8_fp8 v[80:83], a[76:77], a[20:21], v[80:83]// 000000007D58: D3F30050 1D42294C
	v_mfma_f32_16x16x32_fp8_fp8 v[80:83], a[78:79], a[22:23], v[80:83]// 000000007D60: D3F30050 1D422D4E
	v_mfma_f32_16x16x32_fp8_fp8 v[84:87], a[72:73], a[24:25], v[84:87]// 000000007D68: D3F30054 1D523148
	buffer_load_dwordx4 a[124:127], v55, s[84:87], 0 offen offset:1024// 000000007D70: E05C1400 80957C37
	buffer_load_dword v44, s[20:23], 0 offen lds               // 000000007D78: E0511000 8005002C
	s_add_u32 m0, 0x100, s48                                   // 000000007D80: 807C30FF 00000100
	v_mfma_f32_16x16x32_fp8_fp8 v[84:87], a[74:75], a[26:27], v[84:87]// 000000007D88: D3F30054 1D52354A
	v_mfma_f32_16x16x32_fp8_fp8 v[84:87], a[76:77], a[28:29], v[84:87]// 000000007D90: D3F30054 1D52394C
	buffer_load_dword v45, s[20:23], 0 offen lds               // 000000007D98: E0511000 8005002D
	s_add_u32 m0, 0x200, s48                                   // 000000007DA0: 807C30FF 00000200
	v_mfma_f32_16x16x32_fp8_fp8 v[84:87], a[78:79], a[30:31], v[84:87]// 000000007DA8: D3F30054 1D523D4E
	s_waitcnt vmcnt(12)                                        // 000000007DB0: BF8C0F7C
	v_mfma_f32_16x16x32_fp8_fp8 v[88:91], a[80:81], a[0:1], v[88:91]// 000000007DB4: D3F30058 1D620150
	buffer_load_dword v46, s[20:23], 0 offen lds               // 000000007DBC: E0511000 8005002E
	s_add_u32 m0, 0x300, s48                                   // 000000007DC4: 807C30FF 00000300
	v_mfma_f32_16x16x32_fp8_fp8 v[88:91], a[82:83], a[2:3], v[88:91]// 000000007DCC: D3F30058 1D620552
	v_mfma_f32_16x16x32_fp8_fp8 v[88:91], a[84:85], a[4:5], v[88:91]// 000000007DD4: D3F30058 1D620954
	buffer_load_dword v47, s[20:23], 0 offen lds               // 000000007DDC: E0511000 8005002F
	s_add_u32 m0, 0x400, s48                                   // 000000007DE4: 807C30FF 00000400
	v_mfma_f32_16x16x32_fp8_fp8 v[88:91], a[86:87], a[6:7], v[88:91]// 000000007DEC: D3F30058 1D620D56
	v_mfma_f32_16x16x32_fp8_fp8 v[92:95], a[80:81], a[8:9], v[92:95]// 000000007DF4: D3F3005C 1D721150
	buffer_load_dword v48, s[20:23], 0 offen lds               // 000000007DFC: E0511000 80050030
	s_add_u32 m0, 0x500, s48                                   // 000000007E04: 807C30FF 00000500
	v_mfma_f32_16x16x32_fp8_fp8 v[92:95], a[82:83], a[10:11], v[92:95]// 000000007E0C: D3F3005C 1D721552
	v_mfma_f32_16x16x32_fp8_fp8 v[92:95], a[84:85], a[12:13], v[92:95]// 000000007E14: D3F3005C 1D721954
	buffer_load_dword v49, s[20:23], 0 offen lds               // 000000007E1C: E0511000 80050031
	s_add_u32 m0, 0x600, s48                                   // 000000007E24: 807C30FF 00000600
	v_mfma_f32_16x16x32_fp8_fp8 v[92:95], a[86:87], a[14:15], v[92:95]// 000000007E2C: D3F3005C 1D721D56
	v_mfma_f32_16x16x32_fp8_fp8 v[96:99], a[80:81], a[16:17], v[96:99]// 000000007E34: D3F30060 1D822150
	buffer_load_dword v50, s[20:23], 0 offen lds               // 000000007E3C: E0511000 80050032
	s_add_u32 m0, 0x700, s48                                   // 000000007E44: 807C30FF 00000700
	v_mfma_f32_16x16x32_fp8_fp8 v[96:99], a[82:83], a[18:19], v[96:99]// 000000007E4C: D3F30060 1D822552
	v_mfma_f32_16x16x32_fp8_fp8 v[96:99], a[84:85], a[20:21], v[96:99]// 000000007E54: D3F30060 1D822954
	buffer_load_dword v51, s[20:23], 0 offen lds               // 000000007E5C: E0511000 80050033
	s_add_u32 m0, 0, s49                                       // 000000007E64: 807C3180
	v_mfma_f32_16x16x32_fp8_fp8 v[96:99], a[86:87], a[22:23], v[96:99]// 000000007E68: D3F30060 1D822D56
	v_mfma_f32_16x16x32_fp8_fp8 v[100:103], a[80:81], a[24:25], v[100:103]// 000000007E70: D3F30064 1D923150
	v_mfma_f32_16x16x32_fp8_fp8 v[100:103], a[82:83], a[26:27], v[100:103]// 000000007E78: D3F30064 1D923552
	v_mfma_f32_16x16x32_fp8_fp8 v[100:103], a[84:85], a[28:29], v[100:103]// 000000007E80: D3F30064 1D923954
	v_mfma_f32_16x16x32_fp8_fp8 v[100:103], a[86:87], a[30:31], v[100:103]// 000000007E88: D3F30064 1D923D56
	s_waitcnt vmcnt(16)                                        // 000000007E90: BF8C4F70
	v_mfma_f32_16x16x32_fp8_fp8 v[104:107], a[88:89], a[0:1], v[104:107]// 000000007E94: D3F30068 1DA20158
	v_mfma_f32_16x16x32_fp8_fp8 v[104:107], a[90:91], a[2:3], v[104:107]// 000000007E9C: D3F30068 1DA2055A
	v_mfma_f32_16x16x32_fp8_fp8 v[104:107], a[92:93], a[4:5], v[104:107]// 000000007EA4: D3F30068 1DA2095C
	v_mfma_f32_16x16x32_fp8_fp8 v[104:107], a[94:95], a[6:7], v[104:107]// 000000007EAC: D3F30068 1DA20D5E
	v_mfma_f32_16x16x32_fp8_fp8 v[108:111], a[88:89], a[8:9], v[108:111]// 000000007EB4: D3F3006C 1DB21158
	v_mfma_f32_16x16x32_fp8_fp8 v[108:111], a[90:91], a[10:11], v[108:111]// 000000007EBC: D3F3006C 1DB2155A
	v_mfma_f32_16x16x32_fp8_fp8 v[108:111], a[92:93], a[12:13], v[108:111]// 000000007EC4: D3F3006C 1DB2195C
	v_mfma_f32_16x16x32_fp8_fp8 v[108:111], a[94:95], a[14:15], v[108:111]// 000000007ECC: D3F3006C 1DB21D5E
	v_mfma_f32_16x16x32_fp8_fp8 v[112:115], a[88:89], a[16:17], v[112:115]// 000000007ED4: D3F30070 1DC22158
	v_mfma_f32_16x16x32_fp8_fp8 v[112:115], a[90:91], a[18:19], v[112:115]// 000000007EDC: D3F30070 1DC2255A
	v_mfma_f32_16x16x32_fp8_fp8 v[112:115], a[92:93], a[20:21], v[112:115]// 000000007EE4: D3F30070 1DC2295C
	v_mfma_f32_16x16x32_fp8_fp8 v[112:115], a[94:95], a[22:23], v[112:115]// 000000007EEC: D3F30070 1DC22D5E
	v_mfma_f32_16x16x32_fp8_fp8 v[116:119], a[88:89], a[24:25], v[116:119]// 000000007EF4: D3F30074 1DD23158
	v_mfma_f32_16x16x32_fp8_fp8 v[116:119], a[90:91], a[26:27], v[116:119]// 000000007EFC: D3F30074 1DD2355A
	s_add_u32 s60, 0x80, s80                                   // 000000007F04: 803C50FF 00000080
	s_cmp_lt_u32 s60, s81                                      // 000000007F0C: BF0A513C
	s_cselect_b32 s83, s83, 0                                  // 000000007F10: 85538053
	v_mfma_f32_16x16x32_fp8_fp8 v[116:119], a[92:93], a[28:29], v[116:119]// 000000007F14: D3F30074 1DD2395C
	v_mfma_f32_16x16x32_fp8_fp8 v[116:119], a[94:95], a[30:31], v[116:119]// 000000007F1C: D3F30074 1DD23D5E
	s_waitcnt vmcnt(8)                                         // 000000007F24: BF8C0F78
	v_mfma_f32_16x16x32_fp8_fp8 v[120:123], a[96:97], a[0:1], v[120:123]// 000000007F28: D3F30078 1DE20160
	buffer_load_dwordx4 a[64:67], v52, s[24:27], 0 offen       // 000000007F30: E05C1000 80864034
	v_mfma_f32_16x16x32_fp8_fp8 v[120:123], a[98:99], a[2:3], v[120:123]// 000000007F38: D3F30078 1DE20562
	v_mfma_f32_16x16x32_fp8_fp8 v[120:123], a[100:101], a[4:5], v[120:123]// 000000007F40: D3F30078 1DE20964
	ds_read_b128 a[32:35], v2 offset:8320                      // 000000007F48: DBFE2080 20000002
	ds_read_b128 a[36:39], v2 offset:8384                      // 000000007F50: DBFE20C0 24000002
	v_mfma_f32_16x16x32_fp8_fp8 v[120:123], a[102:103], a[6:7], v[120:123]// 000000007F58: D3F30078 1DE20D66
	v_mfma_f32_16x16x32_fp8_fp8 v[136:139], a[104:105], a[0:1], v[136:139]// 000000007F60: D3F30088 1E220168
	buffer_load_dwordx4 a[68:71], v52, s[24:27], 0 offen offset:1024// 000000007F68: E05C1400 80864434
	v_mfma_f32_16x16x32_fp8_fp8 v[136:139], a[106:107], a[2:3], v[136:139]// 000000007F70: D3F30088 1E22056A
	v_mfma_f32_16x16x32_fp8_fp8 v[136:139], a[108:109], a[4:5], v[136:139]// 000000007F78: D3F30088 1E22096C
	ds_read_b128 a[40:43], v2 offset:8832                      // 000000007F80: DBFE2280 28000002
	ds_read_b128 a[44:47], v2 offset:8896                      // 000000007F88: DBFE22C0 2C000002
	v_mfma_f32_16x16x32_fp8_fp8 v[136:139], a[110:111], a[6:7], v[136:139]// 000000007F90: D3F30088 1E220D6E
	v_mfma_f32_16x16x32_fp8_fp8 v[152:155], a[112:113], a[0:1], v[152:155]// 000000007F98: D3F30098 1E620170
	buffer_load_dwordx4 a[72:75], v53, s[24:27], 0 offen       // 000000007FA0: E05C1000 80864835
	v_mfma_f32_16x16x32_fp8_fp8 v[152:155], a[114:115], a[2:3], v[152:155]// 000000007FA8: D3F30098 1E620572
	v_mfma_f32_16x16x32_fp8_fp8 v[152:155], a[116:117], a[4:5], v[152:155]// 000000007FB0: D3F30098 1E620974
	ds_read_b128 a[48:51], v2 offset:9344                      // 000000007FB8: DBFE2480 30000002
	ds_read_b128 a[52:55], v2 offset:9408                      // 000000007FC0: DBFE24C0 34000002
	v_mfma_f32_16x16x32_fp8_fp8 v[152:155], a[118:119], a[6:7], v[152:155]// 000000007FC8: D3F30098 1E620D76
	v_mfma_f32_16x16x32_fp8_fp8 v[168:171], a[120:121], a[0:1], v[168:171]// 000000007FD0: D3F300A8 1EA20178
	buffer_load_dwordx4 a[76:79], v53, s[24:27], 0 offen offset:1024// 000000007FD8: E05C1400 80864C35
	v_mfma_f32_16x16x32_fp8_fp8 v[168:171], a[122:123], a[2:3], v[168:171]// 000000007FE0: D3F300A8 1EA2057A
	v_mfma_f32_16x16x32_fp8_fp8 v[168:171], a[124:125], a[4:5], v[168:171]// 000000007FE8: D3F300A8 1EA2097C
	ds_read_b128 a[56:59], v2 offset:9856                      // 000000007FF0: DBFE2680 38000002
	ds_read_b128 a[60:63], v2 offset:9920                      // 000000007FF8: DBFE26C0 3C000002
	v_mfma_f32_16x16x32_fp8_fp8 v[168:171], a[126:127], a[6:7], v[168:171]// 000000008000: D3F300A8 1EA20D7E
	v_mfma_f32_16x16x32_fp8_fp8 v[124:127], a[96:97], a[8:9], v[124:127]// 000000008008: D3F3007C 1DF21160
	buffer_load_dwordx4 a[80:83], v54, s[24:27], 0 offen       // 000000008010: E05C1000 80865036
	v_mfma_f32_16x16x32_fp8_fp8 v[124:127], a[98:99], a[10:11], v[124:127]// 000000008018: D3F3007C 1DF21562
	v_mfma_f32_16x16x32_fp8_fp8 v[124:127], a[100:101], a[12:13], v[124:127]// 000000008020: D3F3007C 1DF21964
	v_mfma_f32_16x16x32_fp8_fp8 v[124:127], a[102:103], a[14:15], v[124:127]// 000000008028: D3F3007C 1DF21D66
	v_mfma_f32_16x16x32_fp8_fp8 v[140:143], a[104:105], a[8:9], v[140:143]// 000000008030: D3F3008C 1E321168
	buffer_load_dwordx4 a[84:87], v54, s[24:27], 0 offen offset:1024// 000000008038: E05C1400 80865436
	v_mfma_f32_16x16x32_fp8_fp8 v[140:143], a[106:107], a[10:11], v[140:143]// 000000008040: D3F3008C 1E32156A
	v_mfma_f32_16x16x32_fp8_fp8 v[140:143], a[108:109], a[12:13], v[140:143]// 000000008048: D3F3008C 1E32196C
	v_mfma_f32_16x16x32_fp8_fp8 v[140:143], a[110:111], a[14:15], v[140:143]// 000000008050: D3F3008C 1E321D6E
	v_mfma_f32_16x16x32_fp8_fp8 v[156:159], a[112:113], a[8:9], v[156:159]// 000000008058: D3F3009C 1E721170
	buffer_load_dwordx4 a[88:91], v55, s[24:27], 0 offen       // 000000008060: E05C1000 80865837
	v_mfma_f32_16x16x32_fp8_fp8 v[156:159], a[114:115], a[10:11], v[156:159]// 000000008068: D3F3009C 1E721572
	v_mfma_f32_16x16x32_fp8_fp8 v[156:159], a[116:117], a[12:13], v[156:159]// 000000008070: D3F3009C 1E721974
	v_mfma_f32_16x16x32_fp8_fp8 v[156:159], a[118:119], a[14:15], v[156:159]// 000000008078: D3F3009C 1E721D76
	v_mfma_f32_16x16x32_fp8_fp8 v[172:175], a[120:121], a[8:9], v[172:175]// 000000008080: D3F300AC 1EB21178
	buffer_load_dwordx4 a[92:95], v55, s[24:27], 0 offen offset:1024// 000000008088: E05C1400 80865C37
	v_mfma_f32_16x16x32_fp8_fp8 v[172:175], a[122:123], a[10:11], v[172:175]// 000000008090: D3F300AC 1EB2157A
	v_mfma_f32_16x16x32_fp8_fp8 v[172:175], a[124:125], a[12:13], v[172:175]// 000000008098: D3F300AC 1EB2197C
	v_mfma_f32_16x16x32_fp8_fp8 v[172:175], a[126:127], a[14:15], v[172:175]// 0000000080A0: D3F300AC 1EB21D7E
	v_mfma_f32_16x16x32_fp8_fp8 v[128:131], a[96:97], a[16:17], v[128:131]// 0000000080A8: D3F30080 1E022160
	v_mfma_f32_16x16x32_fp8_fp8 v[128:131], a[98:99], a[18:19], v[128:131]// 0000000080B0: D3F30080 1E022562
	v_mfma_f32_16x16x32_fp8_fp8 v[128:131], a[100:101], a[20:21], v[128:131]// 0000000080B8: D3F30080 1E022964
	v_mfma_f32_16x16x32_fp8_fp8 v[128:131], a[102:103], a[22:23], v[128:131]// 0000000080C0: D3F30080 1E022D66
	v_mfma_f32_16x16x32_fp8_fp8 v[144:147], a[104:105], a[16:17], v[144:147]// 0000000080C8: D3F30090 1E422168
	v_mfma_f32_16x16x32_fp8_fp8 v[144:147], a[106:107], a[18:19], v[144:147]// 0000000080D0: D3F30090 1E42256A
	v_mfma_f32_16x16x32_fp8_fp8 v[144:147], a[108:109], a[20:21], v[144:147]// 0000000080D8: D3F30090 1E42296C
	v_mfma_f32_16x16x32_fp8_fp8 v[144:147], a[110:111], a[22:23], v[144:147]// 0000000080E0: D3F30090 1E422D6E
	v_mfma_f32_16x16x32_fp8_fp8 v[160:163], a[112:113], a[16:17], v[160:163]// 0000000080E8: D3F300A0 1E822170
	v_mfma_f32_16x16x32_fp8_fp8 v[160:163], a[114:115], a[18:19], v[160:163]// 0000000080F0: D3F300A0 1E822572
	v_mfma_f32_16x16x32_fp8_fp8 v[160:163], a[116:117], a[20:21], v[160:163]// 0000000080F8: D3F300A0 1E822974
	v_mfma_f32_16x16x32_fp8_fp8 v[160:163], a[118:119], a[22:23], v[160:163]// 000000008100: D3F300A0 1E822D76
	v_mfma_f32_16x16x32_fp8_fp8 v[176:179], a[120:121], a[16:17], v[176:179]// 000000008108: D3F300B0 1EC22178
	v_mfma_f32_16x16x32_fp8_fp8 v[176:179], a[122:123], a[18:19], v[176:179]// 000000008110: D3F300B0 1EC2257A
	v_mfma_f32_16x16x32_fp8_fp8 v[176:179], a[124:125], a[20:21], v[176:179]// 000000008118: D3F300B0 1EC2297C
	v_mfma_f32_16x16x32_fp8_fp8 v[176:179], a[126:127], a[22:23], v[176:179]// 000000008120: D3F300B0 1EC22D7E
	v_mfma_f32_16x16x32_fp8_fp8 v[132:135], a[96:97], a[24:25], v[132:135]// 000000008128: D3F30084 1E123160
	v_mfma_f32_16x16x32_fp8_fp8 v[132:135], a[98:99], a[26:27], v[132:135]// 000000008130: D3F30084 1E123562
	v_mfma_f32_16x16x32_fp8_fp8 v[132:135], a[100:101], a[28:29], v[132:135]// 000000008138: D3F30084 1E123964
	v_mfma_f32_16x16x32_fp8_fp8 v[132:135], a[102:103], a[30:31], v[132:135]// 000000008140: D3F30084 1E123D66
	v_mfma_f32_16x16x32_fp8_fp8 v[148:151], a[104:105], a[24:25], v[148:151]// 000000008148: D3F30094 1E523168
	v_mfma_f32_16x16x32_fp8_fp8 v[148:151], a[106:107], a[26:27], v[148:151]// 000000008150: D3F30094 1E52356A
	v_mfma_f32_16x16x32_fp8_fp8 v[148:151], a[108:109], a[28:29], v[148:151]// 000000008158: D3F30094 1E52396C
	v_mfma_f32_16x16x32_fp8_fp8 v[148:151], a[110:111], a[30:31], v[148:151]// 000000008160: D3F30094 1E523D6E
	v_mfma_f32_16x16x32_fp8_fp8 v[164:167], a[112:113], a[24:25], v[164:167]// 000000008168: D3F300A4 1E923170
	v_mfma_f32_16x16x32_fp8_fp8 v[164:167], a[114:115], a[26:27], v[164:167]// 000000008170: D3F300A4 1E923572
	v_mfma_f32_16x16x32_fp8_fp8 v[164:167], a[116:117], a[28:29], v[164:167]// 000000008178: D3F300A4 1E923974
	s_add_u32 s60, 0x180, s80                                  // 000000008180: 803C50FF 00000180
	s_cmp_lt_u32 s60, s81                                      // 000000008188: BF0A513C
	s_cselect_b32 s57, s57, 0                                  // 00000000818C: 85398039
	v_mfma_f32_16x16x32_fp8_fp8 v[164:167], a[118:119], a[30:31], v[164:167]// 000000008190: D3F300A4 1E923D76
	s_add_u32 s60, 0x100, s80                                  // 000000008198: 803C50FF 00000100
	s_cmp_lt_u32 s60, s81                                      // 0000000081A0: BF0A513C
	s_cselect_b32 s58, s58, 0                                  // 0000000081A4: 853A803A
	v_mfma_f32_16x16x32_fp8_fp8 v[180:183], a[120:121], a[24:25], v[180:183]// 0000000081A8: D3F300B4 1ED23178
	s_add_u32 s24, s58, s24                                    // 0000000081B0: 8018183A
	s_addc_u32 s25, 0, s25                                     // 0000000081B4: 82191980
	v_mfma_f32_16x16x32_fp8_fp8 v[180:183], a[122:123], a[26:27], v[180:183]// 0000000081B8: D3F300B4 1ED2357A
	s_add_u32 s20, s57, s20                                    // 0000000081C0: 80141439
	s_addc_u32 s21, 0, s21                                     // 0000000081C4: 82151580
	v_mfma_f32_16x16x32_fp8_fp8 v[180:183], a[124:125], a[28:29], v[180:183]// 0000000081C8: D3F300B4 1ED2397C
	s_add_u32 s84, s83, s84                                    // 0000000081D0: 80545453
	s_addc_u32 s85, 0, s85                                     // 0000000081D4: 82555580
	v_mfma_f32_16x16x32_fp8_fp8 v[180:183], a[126:127], a[30:31], v[180:183]// 0000000081D8: D3F300B4 1ED23D7E
	s_addk_i32 s80, 0x80                                       // 0000000081E0: B7500080
	s_cmp_lt_i32 s80, s81                                      // 0000000081E4: BF045150
	s_cbranch_scc0 label_1769                                  // 0000000081E8: BF84016B
	s_waitcnt vmcnt(6) lgkmcnt(0)                              // 0000000081EC: BF8C0076
	s_barrier                                                  // 0000000081F0: BF8A0000
	v_mfma_f32_16x16x32_fp8_fp8 v[56:59], a[64:65], a[32:33], v[56:59]// 0000000081F4: D3F30038 1CE24140
	buffer_load_dwordx4 a[96:99], v52, s[84:87], 0 offen       // 0000000081FC: E05C1000 80956034
	v_mfma_f32_16x16x32_fp8_fp8 v[56:59], a[66:67], a[34:35], v[56:59]// 000000008204: D3F30038 1CE24542
	v_mfma_f32_16x16x32_fp8_fp8 v[56:59], a[68:69], a[36:37], v[56:59]// 00000000820C: D3F30038 1CE24944
	v_mfma_f32_16x16x32_fp8_fp8 v[56:59], a[70:71], a[38:39], v[56:59]// 000000008214: D3F30038 1CE24D46
	v_mfma_f32_16x16x32_fp8_fp8 v[60:63], a[64:65], a[40:41], v[60:63]// 00000000821C: D3F3003C 1CF25140
	buffer_load_dwordx4 a[100:103], v52, s[84:87], 0 offen offset:1024// 000000008224: E05C1400 80956434
	v_mfma_f32_16x16x32_fp8_fp8 v[60:63], a[66:67], a[42:43], v[60:63]// 00000000822C: D3F3003C 1CF25542
	v_mfma_f32_16x16x32_fp8_fp8 v[60:63], a[68:69], a[44:45], v[60:63]// 000000008234: D3F3003C 1CF25944
	v_mfma_f32_16x16x32_fp8_fp8 v[60:63], a[70:71], a[46:47], v[60:63]// 00000000823C: D3F3003C 1CF25D46
	v_mfma_f32_16x16x32_fp8_fp8 v[64:67], a[64:65], a[48:49], v[64:67]// 000000008244: D3F30040 1D026140
	buffer_load_dwordx4 a[104:107], v53, s[84:87], 0 offen     // 00000000824C: E05C1000 80956835
	v_mfma_f32_16x16x32_fp8_fp8 v[64:67], a[66:67], a[50:51], v[64:67]// 000000008254: D3F30040 1D026542
	v_mfma_f32_16x16x32_fp8_fp8 v[64:67], a[68:69], a[52:53], v[64:67]// 00000000825C: D3F30040 1D026944
	v_mfma_f32_16x16x32_fp8_fp8 v[64:67], a[70:71], a[54:55], v[64:67]// 000000008264: D3F30040 1D026D46
	v_mfma_f32_16x16x32_fp8_fp8 v[68:71], a[64:65], a[56:57], v[68:71]// 00000000826C: D3F30044 1D127140
	buffer_load_dwordx4 a[108:111], v53, s[84:87], 0 offen offset:1024// 000000008274: E05C1400 80956C35
	v_mfma_f32_16x16x32_fp8_fp8 v[68:71], a[66:67], a[58:59], v[68:71]// 00000000827C: D3F30044 1D127542
	v_mfma_f32_16x16x32_fp8_fp8 v[68:71], a[68:69], a[60:61], v[68:71]// 000000008284: D3F30044 1D127944
	v_mfma_f32_16x16x32_fp8_fp8 v[68:71], a[70:71], a[62:63], v[68:71]// 00000000828C: D3F30044 1D127D46
	s_waitcnt vmcnt(8)                                         // 000000008294: BF8C0F78
	v_mfma_f32_16x16x32_fp8_fp8 v[72:75], a[72:73], a[32:33], v[72:75]// 000000008298: D3F30048 1D224148
	buffer_load_dwordx4 a[112:115], v54, s[84:87], 0 offen     // 0000000082A0: E05C1000 80957036
	v_mfma_f32_16x16x32_fp8_fp8 v[72:75], a[74:75], a[34:35], v[72:75]// 0000000082A8: D3F30048 1D22454A
	v_mfma_f32_16x16x32_fp8_fp8 v[72:75], a[76:77], a[36:37], v[72:75]// 0000000082B0: D3F30048 1D22494C
	v_mfma_f32_16x16x32_fp8_fp8 v[72:75], a[78:79], a[38:39], v[72:75]// 0000000082B8: D3F30048 1D224D4E
	v_mfma_f32_16x16x32_fp8_fp8 v[76:79], a[72:73], a[40:41], v[76:79]// 0000000082C0: D3F3004C 1D325148
	buffer_load_dwordx4 a[116:119], v54, s[84:87], 0 offen offset:1024// 0000000082C8: E05C1400 80957436
	v_mfma_f32_16x16x32_fp8_fp8 v[76:79], a[74:75], a[42:43], v[76:79]// 0000000082D0: D3F3004C 1D32554A
	v_mfma_f32_16x16x32_fp8_fp8 v[76:79], a[76:77], a[44:45], v[76:79]// 0000000082D8: D3F3004C 1D32594C
	v_mfma_f32_16x16x32_fp8_fp8 v[76:79], a[78:79], a[46:47], v[76:79]// 0000000082E0: D3F3004C 1D325D4E
	v_mfma_f32_16x16x32_fp8_fp8 v[80:83], a[72:73], a[48:49], v[80:83]// 0000000082E8: D3F30050 1D426148
	buffer_load_dwordx4 a[120:123], v55, s[84:87], 0 offen     // 0000000082F0: E05C1000 80957837
	v_mfma_f32_16x16x32_fp8_fp8 v[80:83], a[74:75], a[50:51], v[80:83]// 0000000082F8: D3F30050 1D42654A
	v_mfma_f32_16x16x32_fp8_fp8 v[80:83], a[76:77], a[52:53], v[80:83]// 000000008300: D3F30050 1D42694C
	v_mfma_f32_16x16x32_fp8_fp8 v[80:83], a[78:79], a[54:55], v[80:83]// 000000008308: D3F30050 1D426D4E
	v_mfma_f32_16x16x32_fp8_fp8 v[84:87], a[72:73], a[56:57], v[84:87]// 000000008310: D3F30054 1D527148
	buffer_load_dwordx4 a[124:127], v55, s[84:87], 0 offen offset:1024// 000000008318: E05C1400 80957C37
	buffer_load_dword v44, s[20:23], 0 offen lds               // 000000008320: E0511000 8005002C
	s_add_u32 m0, 0x100, s49                                   // 000000008328: 807C31FF 00000100
	v_mfma_f32_16x16x32_fp8_fp8 v[84:87], a[74:75], a[58:59], v[84:87]// 000000008330: D3F30054 1D52754A
	v_mfma_f32_16x16x32_fp8_fp8 v[84:87], a[76:77], a[60:61], v[84:87]// 000000008338: D3F30054 1D52794C
	buffer_load_dword v45, s[20:23], 0 offen lds               // 000000008340: E0511000 8005002D
	s_add_u32 m0, 0x200, s49                                   // 000000008348: 807C31FF 00000200
	v_mfma_f32_16x16x32_fp8_fp8 v[84:87], a[78:79], a[62:63], v[84:87]// 000000008350: D3F30054 1D527D4E
	s_waitcnt vmcnt(12)                                        // 000000008358: BF8C0F7C
	v_mfma_f32_16x16x32_fp8_fp8 v[88:91], a[80:81], a[32:33], v[88:91]// 00000000835C: D3F30058 1D624150
	buffer_load_dword v46, s[20:23], 0 offen lds               // 000000008364: E0511000 8005002E
	s_add_u32 m0, 0x300, s49                                   // 00000000836C: 807C31FF 00000300
	v_mfma_f32_16x16x32_fp8_fp8 v[88:91], a[82:83], a[34:35], v[88:91]// 000000008374: D3F30058 1D624552
	v_mfma_f32_16x16x32_fp8_fp8 v[88:91], a[84:85], a[36:37], v[88:91]// 00000000837C: D3F30058 1D624954
	buffer_load_dword v47, s[20:23], 0 offen lds               // 000000008384: E0511000 8005002F
	s_add_u32 m0, 0x400, s49                                   // 00000000838C: 807C31FF 00000400
	v_mfma_f32_16x16x32_fp8_fp8 v[88:91], a[86:87], a[38:39], v[88:91]// 000000008394: D3F30058 1D624D56
	v_mfma_f32_16x16x32_fp8_fp8 v[92:95], a[80:81], a[40:41], v[92:95]// 00000000839C: D3F3005C 1D725150
	buffer_load_dword v48, s[20:23], 0 offen lds               // 0000000083A4: E0511000 80050030
	s_add_u32 m0, 0x500, s49                                   // 0000000083AC: 807C31FF 00000500
	v_mfma_f32_16x16x32_fp8_fp8 v[92:95], a[82:83], a[42:43], v[92:95]// 0000000083B4: D3F3005C 1D725552
	v_mfma_f32_16x16x32_fp8_fp8 v[92:95], a[84:85], a[44:45], v[92:95]// 0000000083BC: D3F3005C 1D725954
	buffer_load_dword v49, s[20:23], 0 offen lds               // 0000000083C4: E0511000 80050031
	s_add_u32 m0, 0x600, s49                                   // 0000000083CC: 807C31FF 00000600
	v_mfma_f32_16x16x32_fp8_fp8 v[92:95], a[86:87], a[46:47], v[92:95]// 0000000083D4: D3F3005C 1D725D56
	v_mfma_f32_16x16x32_fp8_fp8 v[96:99], a[80:81], a[48:49], v[96:99]// 0000000083DC: D3F30060 1D826150
	buffer_load_dword v50, s[20:23], 0 offen lds               // 0000000083E4: E0511000 80050032
	s_add_u32 m0, 0x700, s49                                   // 0000000083EC: 807C31FF 00000700
	v_mfma_f32_16x16x32_fp8_fp8 v[96:99], a[82:83], a[50:51], v[96:99]// 0000000083F4: D3F30060 1D826552
	v_mfma_f32_16x16x32_fp8_fp8 v[96:99], a[84:85], a[52:53], v[96:99]// 0000000083FC: D3F30060 1D826954
	buffer_load_dword v51, s[20:23], 0 offen lds               // 000000008404: E0511000 80050033
	s_add_u32 m0, 0, s48                                       // 00000000840C: 807C3080
	v_mfma_f32_16x16x32_fp8_fp8 v[96:99], a[86:87], a[54:55], v[96:99]// 000000008410: D3F30060 1D826D56
	v_mfma_f32_16x16x32_fp8_fp8 v[100:103], a[80:81], a[56:57], v[100:103]// 000000008418: D3F30064 1D927150
	v_mfma_f32_16x16x32_fp8_fp8 v[100:103], a[82:83], a[58:59], v[100:103]// 000000008420: D3F30064 1D927552
	v_mfma_f32_16x16x32_fp8_fp8 v[100:103], a[84:85], a[60:61], v[100:103]// 000000008428: D3F30064 1D927954
	v_mfma_f32_16x16x32_fp8_fp8 v[100:103], a[86:87], a[62:63], v[100:103]// 000000008430: D3F30064 1D927D56
	s_waitcnt vmcnt(16)                                        // 000000008438: BF8C4F70
	v_mfma_f32_16x16x32_fp8_fp8 v[104:107], a[88:89], a[32:33], v[104:107]// 00000000843C: D3F30068 1DA24158
	v_mfma_f32_16x16x32_fp8_fp8 v[104:107], a[90:91], a[34:35], v[104:107]// 000000008444: D3F30068 1DA2455A
	v_mfma_f32_16x16x32_fp8_fp8 v[104:107], a[92:93], a[36:37], v[104:107]// 00000000844C: D3F30068 1DA2495C
	v_mfma_f32_16x16x32_fp8_fp8 v[104:107], a[94:95], a[38:39], v[104:107]// 000000008454: D3F30068 1DA24D5E
	v_mfma_f32_16x16x32_fp8_fp8 v[108:111], a[88:89], a[40:41], v[108:111]// 00000000845C: D3F3006C 1DB25158
	v_mfma_f32_16x16x32_fp8_fp8 v[108:111], a[90:91], a[42:43], v[108:111]// 000000008464: D3F3006C 1DB2555A
	v_mfma_f32_16x16x32_fp8_fp8 v[108:111], a[92:93], a[44:45], v[108:111]// 00000000846C: D3F3006C 1DB2595C
	v_mfma_f32_16x16x32_fp8_fp8 v[108:111], a[94:95], a[46:47], v[108:111]// 000000008474: D3F3006C 1DB25D5E
	v_mfma_f32_16x16x32_fp8_fp8 v[112:115], a[88:89], a[48:49], v[112:115]// 00000000847C: D3F30070 1DC26158
	v_mfma_f32_16x16x32_fp8_fp8 v[112:115], a[90:91], a[50:51], v[112:115]// 000000008484: D3F30070 1DC2655A
	v_mfma_f32_16x16x32_fp8_fp8 v[112:115], a[92:93], a[52:53], v[112:115]// 00000000848C: D3F30070 1DC2695C
	v_mfma_f32_16x16x32_fp8_fp8 v[112:115], a[94:95], a[54:55], v[112:115]// 000000008494: D3F30070 1DC26D5E
	v_mfma_f32_16x16x32_fp8_fp8 v[116:119], a[88:89], a[56:57], v[116:119]// 00000000849C: D3F30074 1DD27158
	v_mfma_f32_16x16x32_fp8_fp8 v[116:119], a[90:91], a[58:59], v[116:119]// 0000000084A4: D3F30074 1DD2755A
	s_add_u32 s60, 0x80, s80                                   // 0000000084AC: 803C50FF 00000080
	s_cmp_lt_u32 s60, s81                                      // 0000000084B4: BF0A513C
	s_cselect_b32 s83, s83, 0                                  // 0000000084B8: 85538053
	v_mfma_f32_16x16x32_fp8_fp8 v[116:119], a[92:93], a[60:61], v[116:119]// 0000000084BC: D3F30074 1DD2795C
	v_mfma_f32_16x16x32_fp8_fp8 v[116:119], a[94:95], a[62:63], v[116:119]// 0000000084C4: D3F30074 1DD27D5E
	s_waitcnt vmcnt(8)                                         // 0000000084CC: BF8C0F78
	v_mfma_f32_16x16x32_fp8_fp8 v[120:123], a[96:97], a[32:33], v[120:123]// 0000000084D0: D3F30078 1DE24160
	buffer_load_dwordx4 a[64:67], v52, s[24:27], 0 offen       // 0000000084D8: E05C1000 80864034
	v_mfma_f32_16x16x32_fp8_fp8 v[120:123], a[98:99], a[34:35], v[120:123]// 0000000084E0: D3F30078 1DE24562
	v_mfma_f32_16x16x32_fp8_fp8 v[120:123], a[100:101], a[36:37], v[120:123]// 0000000084E8: D3F30078 1DE24964
	ds_read_b128 a[0:3], v2                                    // 0000000084F0: DBFE0000 00000002
	ds_read_b128 a[4:7], v2 offset:64                          // 0000000084F8: DBFE0040 04000002
	v_mfma_f32_16x16x32_fp8_fp8 v[120:123], a[102:103], a[38:39], v[120:123]// 000000008500: D3F30078 1DE24D66
	v_mfma_f32_16x16x32_fp8_fp8 v[136:139], a[104:105], a[32:33], v[136:139]// 000000008508: D3F30088 1E224168
	buffer_load_dwordx4 a[68:71], v52, s[24:27], 0 offen offset:1024// 000000008510: E05C1400 80864434
	v_mfma_f32_16x16x32_fp8_fp8 v[136:139], a[106:107], a[34:35], v[136:139]// 000000008518: D3F30088 1E22456A
	v_mfma_f32_16x16x32_fp8_fp8 v[136:139], a[108:109], a[36:37], v[136:139]// 000000008520: D3F30088 1E22496C
	ds_read_b128 a[8:11], v2 offset:512                        // 000000008528: DBFE0200 08000002
	ds_read_b128 a[12:15], v2 offset:576                       // 000000008530: DBFE0240 0C000002
	v_mfma_f32_16x16x32_fp8_fp8 v[136:139], a[110:111], a[38:39], v[136:139]// 000000008538: D3F30088 1E224D6E
	v_mfma_f32_16x16x32_fp8_fp8 v[152:155], a[112:113], a[32:33], v[152:155]// 000000008540: D3F30098 1E624170
	buffer_load_dwordx4 a[72:75], v53, s[24:27], 0 offen       // 000000008548: E05C1000 80864835
	v_mfma_f32_16x16x32_fp8_fp8 v[152:155], a[114:115], a[34:35], v[152:155]// 000000008550: D3F30098 1E624572
	v_mfma_f32_16x16x32_fp8_fp8 v[152:155], a[116:117], a[36:37], v[152:155]// 000000008558: D3F30098 1E624974
	ds_read_b128 a[16:19], v2 offset:1024                      // 000000008560: DBFE0400 10000002
	ds_read_b128 a[20:23], v2 offset:1088                      // 000000008568: DBFE0440 14000002
	v_mfma_f32_16x16x32_fp8_fp8 v[152:155], a[118:119], a[38:39], v[152:155]// 000000008570: D3F30098 1E624D76
	v_mfma_f32_16x16x32_fp8_fp8 v[168:171], a[120:121], a[32:33], v[168:171]// 000000008578: D3F300A8 1EA24178
	buffer_load_dwordx4 a[76:79], v53, s[24:27], 0 offen offset:1024// 000000008580: E05C1400 80864C35
	v_mfma_f32_16x16x32_fp8_fp8 v[168:171], a[122:123], a[34:35], v[168:171]// 000000008588: D3F300A8 1EA2457A
	v_mfma_f32_16x16x32_fp8_fp8 v[168:171], a[124:125], a[36:37], v[168:171]// 000000008590: D3F300A8 1EA2497C
	ds_read_b128 a[24:27], v2 offset:1536                      // 000000008598: DBFE0600 18000002
	ds_read_b128 a[28:31], v2 offset:1600                      // 0000000085A0: DBFE0640 1C000002
	v_mfma_f32_16x16x32_fp8_fp8 v[168:171], a[126:127], a[38:39], v[168:171]// 0000000085A8: D3F300A8 1EA24D7E
	v_mfma_f32_16x16x32_fp8_fp8 v[124:127], a[96:97], a[40:41], v[124:127]// 0000000085B0: D3F3007C 1DF25160
	buffer_load_dwordx4 a[80:83], v54, s[24:27], 0 offen       // 0000000085B8: E05C1000 80865036
	v_mfma_f32_16x16x32_fp8_fp8 v[124:127], a[98:99], a[42:43], v[124:127]// 0000000085C0: D3F3007C 1DF25562
	v_mfma_f32_16x16x32_fp8_fp8 v[124:127], a[100:101], a[44:45], v[124:127]// 0000000085C8: D3F3007C 1DF25964
	v_mfma_f32_16x16x32_fp8_fp8 v[124:127], a[102:103], a[46:47], v[124:127]// 0000000085D0: D3F3007C 1DF25D66
	v_mfma_f32_16x16x32_fp8_fp8 v[140:143], a[104:105], a[40:41], v[140:143]// 0000000085D8: D3F3008C 1E325168
	buffer_load_dwordx4 a[84:87], v54, s[24:27], 0 offen offset:1024// 0000000085E0: E05C1400 80865436
	v_mfma_f32_16x16x32_fp8_fp8 v[140:143], a[106:107], a[42:43], v[140:143]// 0000000085E8: D3F3008C 1E32556A
	v_mfma_f32_16x16x32_fp8_fp8 v[140:143], a[108:109], a[44:45], v[140:143]// 0000000085F0: D3F3008C 1E32596C
	v_mfma_f32_16x16x32_fp8_fp8 v[140:143], a[110:111], a[46:47], v[140:143]// 0000000085F8: D3F3008C 1E325D6E
	v_mfma_f32_16x16x32_fp8_fp8 v[156:159], a[112:113], a[40:41], v[156:159]// 000000008600: D3F3009C 1E725170
	buffer_load_dwordx4 a[88:91], v55, s[24:27], 0 offen       // 000000008608: E05C1000 80865837
	v_mfma_f32_16x16x32_fp8_fp8 v[156:159], a[114:115], a[42:43], v[156:159]// 000000008610: D3F3009C 1E725572
	v_mfma_f32_16x16x32_fp8_fp8 v[156:159], a[116:117], a[44:45], v[156:159]// 000000008618: D3F3009C 1E725974
	v_mfma_f32_16x16x32_fp8_fp8 v[156:159], a[118:119], a[46:47], v[156:159]// 000000008620: D3F3009C 1E725D76
	v_mfma_f32_16x16x32_fp8_fp8 v[172:175], a[120:121], a[40:41], v[172:175]// 000000008628: D3F300AC 1EB25178
	buffer_load_dwordx4 a[92:95], v55, s[24:27], 0 offen offset:1024// 000000008630: E05C1400 80865C37
	v_mfma_f32_16x16x32_fp8_fp8 v[172:175], a[122:123], a[42:43], v[172:175]// 000000008638: D3F300AC 1EB2557A
	v_mfma_f32_16x16x32_fp8_fp8 v[172:175], a[124:125], a[44:45], v[172:175]// 000000008640: D3F300AC 1EB2597C
	v_mfma_f32_16x16x32_fp8_fp8 v[172:175], a[126:127], a[46:47], v[172:175]// 000000008648: D3F300AC 1EB25D7E
	v_mfma_f32_16x16x32_fp8_fp8 v[128:131], a[96:97], a[48:49], v[128:131]// 000000008650: D3F30080 1E026160
	v_mfma_f32_16x16x32_fp8_fp8 v[128:131], a[98:99], a[50:51], v[128:131]// 000000008658: D3F30080 1E026562
	v_mfma_f32_16x16x32_fp8_fp8 v[128:131], a[100:101], a[52:53], v[128:131]// 000000008660: D3F30080 1E026964
	v_mfma_f32_16x16x32_fp8_fp8 v[128:131], a[102:103], a[54:55], v[128:131]// 000000008668: D3F30080 1E026D66
	v_mfma_f32_16x16x32_fp8_fp8 v[144:147], a[104:105], a[48:49], v[144:147]// 000000008670: D3F30090 1E426168
	v_mfma_f32_16x16x32_fp8_fp8 v[144:147], a[106:107], a[50:51], v[144:147]// 000000008678: D3F30090 1E42656A
	v_mfma_f32_16x16x32_fp8_fp8 v[144:147], a[108:109], a[52:53], v[144:147]// 000000008680: D3F30090 1E42696C
	v_mfma_f32_16x16x32_fp8_fp8 v[144:147], a[110:111], a[54:55], v[144:147]// 000000008688: D3F30090 1E426D6E
	v_mfma_f32_16x16x32_fp8_fp8 v[160:163], a[112:113], a[48:49], v[160:163]// 000000008690: D3F300A0 1E826170
	v_mfma_f32_16x16x32_fp8_fp8 v[160:163], a[114:115], a[50:51], v[160:163]// 000000008698: D3F300A0 1E826572
	v_mfma_f32_16x16x32_fp8_fp8 v[160:163], a[116:117], a[52:53], v[160:163]// 0000000086A0: D3F300A0 1E826974
	v_mfma_f32_16x16x32_fp8_fp8 v[160:163], a[118:119], a[54:55], v[160:163]// 0000000086A8: D3F300A0 1E826D76
	v_mfma_f32_16x16x32_fp8_fp8 v[176:179], a[120:121], a[48:49], v[176:179]// 0000000086B0: D3F300B0 1EC26178
	v_mfma_f32_16x16x32_fp8_fp8 v[176:179], a[122:123], a[50:51], v[176:179]// 0000000086B8: D3F300B0 1EC2657A
	v_mfma_f32_16x16x32_fp8_fp8 v[176:179], a[124:125], a[52:53], v[176:179]// 0000000086C0: D3F300B0 1EC2697C
	v_mfma_f32_16x16x32_fp8_fp8 v[176:179], a[126:127], a[54:55], v[176:179]// 0000000086C8: D3F300B0 1EC26D7E
	v_mfma_f32_16x16x32_fp8_fp8 v[132:135], a[96:97], a[56:57], v[132:135]// 0000000086D0: D3F30084 1E127160
	v_mfma_f32_16x16x32_fp8_fp8 v[132:135], a[98:99], a[58:59], v[132:135]// 0000000086D8: D3F30084 1E127562
	v_mfma_f32_16x16x32_fp8_fp8 v[132:135], a[100:101], a[60:61], v[132:135]// 0000000086E0: D3F30084 1E127964
	v_mfma_f32_16x16x32_fp8_fp8 v[132:135], a[102:103], a[62:63], v[132:135]// 0000000086E8: D3F30084 1E127D66
	v_mfma_f32_16x16x32_fp8_fp8 v[148:151], a[104:105], a[56:57], v[148:151]// 0000000086F0: D3F30094 1E527168
	v_mfma_f32_16x16x32_fp8_fp8 v[148:151], a[106:107], a[58:59], v[148:151]// 0000000086F8: D3F30094 1E52756A
	v_mfma_f32_16x16x32_fp8_fp8 v[148:151], a[108:109], a[60:61], v[148:151]// 000000008700: D3F30094 1E52796C
	v_mfma_f32_16x16x32_fp8_fp8 v[148:151], a[110:111], a[62:63], v[148:151]// 000000008708: D3F30094 1E527D6E
	v_mfma_f32_16x16x32_fp8_fp8 v[164:167], a[112:113], a[56:57], v[164:167]// 000000008710: D3F300A4 1E927170
	v_mfma_f32_16x16x32_fp8_fp8 v[164:167], a[114:115], a[58:59], v[164:167]// 000000008718: D3F300A4 1E927572
	v_mfma_f32_16x16x32_fp8_fp8 v[164:167], a[116:117], a[60:61], v[164:167]// 000000008720: D3F300A4 1E927974
	s_add_u32 s60, 0x180, s80                                  // 000000008728: 803C50FF 00000180
	s_cmp_lt_u32 s60, s81                                      // 000000008730: BF0A513C
	s_cselect_b32 s57, s57, 0                                  // 000000008734: 85398039
	v_mfma_f32_16x16x32_fp8_fp8 v[164:167], a[118:119], a[62:63], v[164:167]// 000000008738: D3F300A4 1E927D76
	s_add_u32 s60, 0x100, s80                                  // 000000008740: 803C50FF 00000100
	s_cmp_lt_u32 s60, s81                                      // 000000008748: BF0A513C
	s_cselect_b32 s58, s58, 0                                  // 00000000874C: 853A803A
	v_mfma_f32_16x16x32_fp8_fp8 v[180:183], a[120:121], a[56:57], v[180:183]// 000000008750: D3F300B4 1ED27178
	s_add_u32 s24, s58, s24                                    // 000000008758: 8018183A
	s_addc_u32 s25, 0, s25                                     // 00000000875C: 82191980
	v_mfma_f32_16x16x32_fp8_fp8 v[180:183], a[122:123], a[58:59], v[180:183]// 000000008760: D3F300B4 1ED2757A
	s_add_u32 s20, s57, s20                                    // 000000008768: 80141439
	s_addc_u32 s21, 0, s21                                     // 00000000876C: 82151580
	v_mfma_f32_16x16x32_fp8_fp8 v[180:183], a[124:125], a[60:61], v[180:183]// 000000008770: D3F300B4 1ED2797C
	s_add_u32 s84, s83, s84                                    // 000000008778: 80545453
	s_addc_u32 s85, 0, s85                                     // 00000000877C: 82555580
	v_mfma_f32_16x16x32_fp8_fp8 v[180:183], a[126:127], a[62:63], v[180:183]// 000000008780: D3F300B4 1ED27D7E
	s_addk_i32 s80, 0x80                                       // 000000008788: B7500080
	s_cmp_lt_i32 s80, s81                                      // 00000000878C: BF045150
	s_cbranch_scc0 label_1769                                  // 000000008790: BF840001
	s_branch label_1494                                        // 000000008794: BF82FD2B

0000000000008798 <label_1769>:
	v_mul_f32_dpp v56, v24, v56 row_newbcast:0 row_mask:0xf bank_mask:0xf// 000000008798: 0A7070FA FF015018
	v_mul_f32_dpp v57, v24, v57 row_newbcast:1 row_mask:0xf bank_mask:0xf// 0000000087A0: 0A7272FA FF015118
	v_mul_f32_dpp v58, v24, v58 row_newbcast:2 row_mask:0xf bank_mask:0xf// 0000000087A8: 0A7474FA FF015218
	v_mul_f32_dpp v59, v24, v59 row_newbcast:3 row_mask:0xf bank_mask:0xf// 0000000087B0: 0A7676FA FF015318
	v_mul_f32_dpp v60, v24, v60 row_newbcast:0 row_mask:0xf bank_mask:0xf// 0000000087B8: 0A7878FA FF015018
	v_mul_f32_dpp v61, v24, v61 row_newbcast:1 row_mask:0xf bank_mask:0xf// 0000000087C0: 0A7A7AFA FF015118
	v_mul_f32_dpp v62, v24, v62 row_newbcast:2 row_mask:0xf bank_mask:0xf// 0000000087C8: 0A7C7CFA FF015218
	v_mul_f32_dpp v63, v24, v63 row_newbcast:3 row_mask:0xf bank_mask:0xf// 0000000087D0: 0A7E7EFA FF015318
	v_mul_f32_dpp v64, v24, v64 row_newbcast:0 row_mask:0xf bank_mask:0xf// 0000000087D8: 0A8080FA FF015018
	v_mul_f32_dpp v65, v24, v65 row_newbcast:1 row_mask:0xf bank_mask:0xf// 0000000087E0: 0A8282FA FF015118
	v_mul_f32_dpp v66, v24, v66 row_newbcast:2 row_mask:0xf bank_mask:0xf// 0000000087E8: 0A8484FA FF015218
	v_mul_f32_dpp v67, v24, v67 row_newbcast:3 row_mask:0xf bank_mask:0xf// 0000000087F0: 0A8686FA FF015318
	v_mul_f32_dpp v68, v24, v68 row_newbcast:0 row_mask:0xf bank_mask:0xf// 0000000087F8: 0A8888FA FF015018
	v_mul_f32_dpp v69, v24, v69 row_newbcast:1 row_mask:0xf bank_mask:0xf// 000000008800: 0A8A8AFA FF015118
	v_mul_f32_dpp v70, v24, v70 row_newbcast:2 row_mask:0xf bank_mask:0xf// 000000008808: 0A8C8CFA FF015218
	v_mul_f32_dpp v71, v24, v71 row_newbcast:3 row_mask:0xf bank_mask:0xf// 000000008810: 0A8E8EFA FF015318
	v_mul_f32_dpp v72, v24, v72 row_newbcast:4 row_mask:0xf bank_mask:0xf// 000000008818: 0A9090FA FF015418
	v_mul_f32_dpp v73, v24, v73 row_newbcast:5 row_mask:0xf bank_mask:0xf// 000000008820: 0A9292FA FF015518
	v_mul_f32_dpp v74, v24, v74 row_newbcast:6 row_mask:0xf bank_mask:0xf// 000000008828: 0A9494FA FF015618
	v_mul_f32_dpp v75, v24, v75 row_newbcast:7 row_mask:0xf bank_mask:0xf// 000000008830: 0A9696FA FF015718
	v_mul_f32_dpp v76, v24, v76 row_newbcast:4 row_mask:0xf bank_mask:0xf// 000000008838: 0A9898FA FF015418
	v_mul_f32_dpp v77, v24, v77 row_newbcast:5 row_mask:0xf bank_mask:0xf// 000000008840: 0A9A9AFA FF015518
	v_mul_f32_dpp v78, v24, v78 row_newbcast:6 row_mask:0xf bank_mask:0xf// 000000008848: 0A9C9CFA FF015618
	v_mul_f32_dpp v79, v24, v79 row_newbcast:7 row_mask:0xf bank_mask:0xf// 000000008850: 0A9E9EFA FF015718
	v_mul_f32_dpp v80, v24, v80 row_newbcast:4 row_mask:0xf bank_mask:0xf// 000000008858: 0AA0A0FA FF015418
	v_mul_f32_dpp v81, v24, v81 row_newbcast:5 row_mask:0xf bank_mask:0xf// 000000008860: 0AA2A2FA FF015518
	v_mul_f32_dpp v82, v24, v82 row_newbcast:6 row_mask:0xf bank_mask:0xf// 000000008868: 0AA4A4FA FF015618
	v_mul_f32_dpp v83, v24, v83 row_newbcast:7 row_mask:0xf bank_mask:0xf// 000000008870: 0AA6A6FA FF015718
	v_mul_f32_dpp v84, v24, v84 row_newbcast:4 row_mask:0xf bank_mask:0xf// 000000008878: 0AA8A8FA FF015418
	v_mul_f32_dpp v85, v24, v85 row_newbcast:5 row_mask:0xf bank_mask:0xf// 000000008880: 0AAAAAFA FF015518
	v_mul_f32_dpp v86, v24, v86 row_newbcast:6 row_mask:0xf bank_mask:0xf// 000000008888: 0AACACFA FF015618
	v_mul_f32_dpp v87, v24, v87 row_newbcast:7 row_mask:0xf bank_mask:0xf// 000000008890: 0AAEAEFA FF015718
	v_mul_f32_dpp v88, v24, v88 row_newbcast:8 row_mask:0xf bank_mask:0xf// 000000008898: 0AB0B0FA FF015818
	v_mul_f32_dpp v89, v24, v89 row_newbcast:9 row_mask:0xf bank_mask:0xf// 0000000088A0: 0AB2B2FA FF015918
	v_mul_f32_dpp v90, v24, v90 row_newbcast:10 row_mask:0xf bank_mask:0xf// 0000000088A8: 0AB4B4FA FF015A18
	v_mul_f32_dpp v91, v24, v91 row_newbcast:11 row_mask:0xf bank_mask:0xf// 0000000088B0: 0AB6B6FA FF015B18
	v_mul_f32_dpp v92, v24, v92 row_newbcast:8 row_mask:0xf bank_mask:0xf// 0000000088B8: 0AB8B8FA FF015818
	v_mul_f32_dpp v93, v24, v93 row_newbcast:9 row_mask:0xf bank_mask:0xf// 0000000088C0: 0ABABAFA FF015918
	v_mul_f32_dpp v94, v24, v94 row_newbcast:10 row_mask:0xf bank_mask:0xf// 0000000088C8: 0ABCBCFA FF015A18
	v_mul_f32_dpp v95, v24, v95 row_newbcast:11 row_mask:0xf bank_mask:0xf// 0000000088D0: 0ABEBEFA FF015B18
	v_mul_f32_dpp v96, v24, v96 row_newbcast:8 row_mask:0xf bank_mask:0xf// 0000000088D8: 0AC0C0FA FF015818
	v_mul_f32_dpp v97, v24, v97 row_newbcast:9 row_mask:0xf bank_mask:0xf// 0000000088E0: 0AC2C2FA FF015918
	v_mul_f32_dpp v98, v24, v98 row_newbcast:10 row_mask:0xf bank_mask:0xf// 0000000088E8: 0AC4C4FA FF015A18
	v_mul_f32_dpp v99, v24, v99 row_newbcast:11 row_mask:0xf bank_mask:0xf// 0000000088F0: 0AC6C6FA FF015B18
	v_mul_f32_dpp v100, v24, v100 row_newbcast:8 row_mask:0xf bank_mask:0xf// 0000000088F8: 0AC8C8FA FF015818
	v_mul_f32_dpp v101, v24, v101 row_newbcast:9 row_mask:0xf bank_mask:0xf// 000000008900: 0ACACAFA FF015918
	v_mul_f32_dpp v102, v24, v102 row_newbcast:10 row_mask:0xf bank_mask:0xf// 000000008908: 0ACCCCFA FF015A18
	v_mul_f32_dpp v103, v24, v103 row_newbcast:11 row_mask:0xf bank_mask:0xf// 000000008910: 0ACECEFA FF015B18
	v_mul_f32_dpp v104, v24, v104 row_newbcast:12 row_mask:0xf bank_mask:0xf// 000000008918: 0AD0D0FA FF015C18
	v_mul_f32_dpp v105, v24, v105 row_newbcast:13 row_mask:0xf bank_mask:0xf// 000000008920: 0AD2D2FA FF015D18
	v_mul_f32_dpp v106, v24, v106 row_newbcast:14 row_mask:0xf bank_mask:0xf// 000000008928: 0AD4D4FA FF015E18
	v_mul_f32_dpp v107, v24, v107 row_newbcast:15 row_mask:0xf bank_mask:0xf// 000000008930: 0AD6D6FA FF015F18
	v_mul_f32_dpp v108, v24, v108 row_newbcast:12 row_mask:0xf bank_mask:0xf// 000000008938: 0AD8D8FA FF015C18
	v_mul_f32_dpp v109, v24, v109 row_newbcast:13 row_mask:0xf bank_mask:0xf// 000000008940: 0ADADAFA FF015D18
	v_mul_f32_dpp v110, v24, v110 row_newbcast:14 row_mask:0xf bank_mask:0xf// 000000008948: 0ADCDCFA FF015E18
	v_mul_f32_dpp v111, v24, v111 row_newbcast:15 row_mask:0xf bank_mask:0xf// 000000008950: 0ADEDEFA FF015F18
	v_mul_f32_dpp v112, v24, v112 row_newbcast:12 row_mask:0xf bank_mask:0xf// 000000008958: 0AE0E0FA FF015C18
	v_mul_f32_dpp v113, v24, v113 row_newbcast:13 row_mask:0xf bank_mask:0xf// 000000008960: 0AE2E2FA FF015D18
	v_mul_f32_dpp v114, v24, v114 row_newbcast:14 row_mask:0xf bank_mask:0xf// 000000008968: 0AE4E4FA FF015E18
	v_mul_f32_dpp v115, v24, v115 row_newbcast:15 row_mask:0xf bank_mask:0xf// 000000008970: 0AE6E6FA FF015F18
	v_mul_f32_dpp v116, v24, v116 row_newbcast:12 row_mask:0xf bank_mask:0xf// 000000008978: 0AE8E8FA FF015C18
	v_mul_f32_dpp v117, v24, v117 row_newbcast:13 row_mask:0xf bank_mask:0xf// 000000008980: 0AEAEAFA FF015D18
	v_mul_f32_dpp v118, v24, v118 row_newbcast:14 row_mask:0xf bank_mask:0xf// 000000008988: 0AECECFA FF015E18
	v_mul_f32_dpp v119, v24, v119 row_newbcast:15 row_mask:0xf bank_mask:0xf// 000000008990: 0AEEEEFA FF015F18
	v_mul_f32_dpp v120, v26, v120 row_newbcast:0 row_mask:0xf bank_mask:0xf// 000000008998: 0AF0F0FA FF01501A
	v_mul_f32_dpp v121, v26, v121 row_newbcast:1 row_mask:0xf bank_mask:0xf// 0000000089A0: 0AF2F2FA FF01511A
	v_mul_f32_dpp v122, v26, v122 row_newbcast:2 row_mask:0xf bank_mask:0xf// 0000000089A8: 0AF4F4FA FF01521A
	v_mul_f32_dpp v123, v26, v123 row_newbcast:3 row_mask:0xf bank_mask:0xf// 0000000089B0: 0AF6F6FA FF01531A
	v_mul_f32_dpp v124, v26, v124 row_newbcast:0 row_mask:0xf bank_mask:0xf// 0000000089B8: 0AF8F8FA FF01501A
	v_mul_f32_dpp v125, v26, v125 row_newbcast:1 row_mask:0xf bank_mask:0xf// 0000000089C0: 0AFAFAFA FF01511A
	v_mul_f32_dpp v126, v26, v126 row_newbcast:2 row_mask:0xf bank_mask:0xf// 0000000089C8: 0AFCFCFA FF01521A
	v_mul_f32_dpp v127, v26, v127 row_newbcast:3 row_mask:0xf bank_mask:0xf// 0000000089D0: 0AFEFEFA FF01531A
	v_mul_f32_dpp v128, v26, v128 row_newbcast:0 row_mask:0xf bank_mask:0xf// 0000000089D8: 0B0100FA FF01501A
	v_mul_f32_dpp v129, v26, v129 row_newbcast:1 row_mask:0xf bank_mask:0xf// 0000000089E0: 0B0302FA FF01511A
	v_mul_f32_dpp v130, v26, v130 row_newbcast:2 row_mask:0xf bank_mask:0xf// 0000000089E8: 0B0504FA FF01521A
	v_mul_f32_dpp v131, v26, v131 row_newbcast:3 row_mask:0xf bank_mask:0xf// 0000000089F0: 0B0706FA FF01531A
	v_mul_f32_dpp v132, v26, v132 row_newbcast:0 row_mask:0xf bank_mask:0xf// 0000000089F8: 0B0908FA FF01501A
	v_mul_f32_dpp v133, v26, v133 row_newbcast:1 row_mask:0xf bank_mask:0xf// 000000008A00: 0B0B0AFA FF01511A
	v_mul_f32_dpp v134, v26, v134 row_newbcast:2 row_mask:0xf bank_mask:0xf// 000000008A08: 0B0D0CFA FF01521A
	v_mul_f32_dpp v135, v26, v135 row_newbcast:3 row_mask:0xf bank_mask:0xf// 000000008A10: 0B0F0EFA FF01531A
	v_mul_f32_dpp v136, v26, v136 row_newbcast:4 row_mask:0xf bank_mask:0xf// 000000008A18: 0B1110FA FF01541A
	v_mul_f32_dpp v137, v26, v137 row_newbcast:5 row_mask:0xf bank_mask:0xf// 000000008A20: 0B1312FA FF01551A
	v_mul_f32_dpp v138, v26, v138 row_newbcast:6 row_mask:0xf bank_mask:0xf// 000000008A28: 0B1514FA FF01561A
	v_mul_f32_dpp v139, v26, v139 row_newbcast:7 row_mask:0xf bank_mask:0xf// 000000008A30: 0B1716FA FF01571A
	v_mul_f32_dpp v140, v26, v140 row_newbcast:4 row_mask:0xf bank_mask:0xf// 000000008A38: 0B1918FA FF01541A
	v_mul_f32_dpp v141, v26, v141 row_newbcast:5 row_mask:0xf bank_mask:0xf// 000000008A40: 0B1B1AFA FF01551A
	v_mul_f32_dpp v142, v26, v142 row_newbcast:6 row_mask:0xf bank_mask:0xf// 000000008A48: 0B1D1CFA FF01561A
	v_mul_f32_dpp v143, v26, v143 row_newbcast:7 row_mask:0xf bank_mask:0xf// 000000008A50: 0B1F1EFA FF01571A
	v_mul_f32_dpp v144, v26, v144 row_newbcast:4 row_mask:0xf bank_mask:0xf// 000000008A58: 0B2120FA FF01541A
	v_mul_f32_dpp v145, v26, v145 row_newbcast:5 row_mask:0xf bank_mask:0xf// 000000008A60: 0B2322FA FF01551A
	v_mul_f32_dpp v146, v26, v146 row_newbcast:6 row_mask:0xf bank_mask:0xf// 000000008A68: 0B2524FA FF01561A
	v_mul_f32_dpp v147, v26, v147 row_newbcast:7 row_mask:0xf bank_mask:0xf// 000000008A70: 0B2726FA FF01571A
	v_mul_f32_dpp v148, v26, v148 row_newbcast:4 row_mask:0xf bank_mask:0xf// 000000008A78: 0B2928FA FF01541A
	v_mul_f32_dpp v149, v26, v149 row_newbcast:5 row_mask:0xf bank_mask:0xf// 000000008A80: 0B2B2AFA FF01551A
	v_mul_f32_dpp v150, v26, v150 row_newbcast:6 row_mask:0xf bank_mask:0xf// 000000008A88: 0B2D2CFA FF01561A
	v_mul_f32_dpp v151, v26, v151 row_newbcast:7 row_mask:0xf bank_mask:0xf// 000000008A90: 0B2F2EFA FF01571A
	v_mul_f32_dpp v152, v26, v152 row_newbcast:8 row_mask:0xf bank_mask:0xf// 000000008A98: 0B3130FA FF01581A
	v_mul_f32_dpp v153, v26, v153 row_newbcast:9 row_mask:0xf bank_mask:0xf// 000000008AA0: 0B3332FA FF01591A
	v_mul_f32_dpp v154, v26, v154 row_newbcast:10 row_mask:0xf bank_mask:0xf// 000000008AA8: 0B3534FA FF015A1A
	v_mul_f32_dpp v155, v26, v155 row_newbcast:11 row_mask:0xf bank_mask:0xf// 000000008AB0: 0B3736FA FF015B1A
	v_mul_f32_dpp v156, v26, v156 row_newbcast:8 row_mask:0xf bank_mask:0xf// 000000008AB8: 0B3938FA FF01581A
	v_mul_f32_dpp v157, v26, v157 row_newbcast:9 row_mask:0xf bank_mask:0xf// 000000008AC0: 0B3B3AFA FF01591A
	v_mul_f32_dpp v158, v26, v158 row_newbcast:10 row_mask:0xf bank_mask:0xf// 000000008AC8: 0B3D3CFA FF015A1A
	v_mul_f32_dpp v159, v26, v159 row_newbcast:11 row_mask:0xf bank_mask:0xf// 000000008AD0: 0B3F3EFA FF015B1A
	v_mul_f32_dpp v160, v26, v160 row_newbcast:8 row_mask:0xf bank_mask:0xf// 000000008AD8: 0B4140FA FF01581A
	v_mul_f32_dpp v161, v26, v161 row_newbcast:9 row_mask:0xf bank_mask:0xf// 000000008AE0: 0B4342FA FF01591A
	v_mul_f32_dpp v162, v26, v162 row_newbcast:10 row_mask:0xf bank_mask:0xf// 000000008AE8: 0B4544FA FF015A1A
	v_mul_f32_dpp v163, v26, v163 row_newbcast:11 row_mask:0xf bank_mask:0xf// 000000008AF0: 0B4746FA FF015B1A
	v_mul_f32_dpp v164, v26, v164 row_newbcast:8 row_mask:0xf bank_mask:0xf// 000000008AF8: 0B4948FA FF01581A
	v_mul_f32_dpp v165, v26, v165 row_newbcast:9 row_mask:0xf bank_mask:0xf// 000000008B00: 0B4B4AFA FF01591A
	v_mul_f32_dpp v166, v26, v166 row_newbcast:10 row_mask:0xf bank_mask:0xf// 000000008B08: 0B4D4CFA FF015A1A
	v_mul_f32_dpp v167, v26, v167 row_newbcast:11 row_mask:0xf bank_mask:0xf// 000000008B10: 0B4F4EFA FF015B1A
	v_mul_f32_dpp v168, v26, v168 row_newbcast:12 row_mask:0xf bank_mask:0xf// 000000008B18: 0B5150FA FF015C1A
	v_mul_f32_dpp v169, v26, v169 row_newbcast:13 row_mask:0xf bank_mask:0xf// 000000008B20: 0B5352FA FF015D1A
	v_mul_f32_dpp v170, v26, v170 row_newbcast:14 row_mask:0xf bank_mask:0xf// 000000008B28: 0B5554FA FF015E1A
	v_mul_f32_dpp v171, v26, v171 row_newbcast:15 row_mask:0xf bank_mask:0xf// 000000008B30: 0B5756FA FF015F1A
	v_mul_f32_dpp v172, v26, v172 row_newbcast:12 row_mask:0xf bank_mask:0xf// 000000008B38: 0B5958FA FF015C1A
	v_mul_f32_dpp v173, v26, v173 row_newbcast:13 row_mask:0xf bank_mask:0xf// 000000008B40: 0B5B5AFA FF015D1A
	v_mul_f32_dpp v174, v26, v174 row_newbcast:14 row_mask:0xf bank_mask:0xf// 000000008B48: 0B5D5CFA FF015E1A
	v_mul_f32_dpp v175, v26, v175 row_newbcast:15 row_mask:0xf bank_mask:0xf// 000000008B50: 0B5F5EFA FF015F1A
	v_mul_f32_dpp v176, v26, v176 row_newbcast:12 row_mask:0xf bank_mask:0xf// 000000008B58: 0B6160FA FF015C1A
	v_mul_f32_dpp v177, v26, v177 row_newbcast:13 row_mask:0xf bank_mask:0xf// 000000008B60: 0B6362FA FF015D1A
	v_mul_f32_dpp v178, v26, v178 row_newbcast:14 row_mask:0xf bank_mask:0xf// 000000008B68: 0B6564FA FF015E1A
	v_mul_f32_dpp v179, v26, v179 row_newbcast:15 row_mask:0xf bank_mask:0xf// 000000008B70: 0B6766FA FF015F1A
	v_mul_f32_dpp v180, v26, v180 row_newbcast:12 row_mask:0xf bank_mask:0xf// 000000008B78: 0B6968FA FF015C1A
	v_mul_f32_dpp v181, v26, v181 row_newbcast:13 row_mask:0xf bank_mask:0xf// 000000008B80: 0B6B6AFA FF015D1A
	v_mul_f32_dpp v182, v26, v182 row_newbcast:14 row_mask:0xf bank_mask:0xf// 000000008B88: 0B6D6CFA FF015E1A
	v_mul_f32_dpp v183, v26, v183 row_newbcast:15 row_mask:0xf bank_mask:0xf// 000000008B90: 0B6F6EFA FF015F1A
	v_mov_b32_e32 v4, v32                                      // 000000008B98: 7E080320
	v_mov_b32_e32 v5, v4                                       // 000000008B9C: 7E0A0304
	v_pk_mul_f32 v[56:57], v[4:5], v[56:57]                    // 000000008BA0: D3B14038 18027104
	v_pk_mul_f32 v[120:121], v[4:5], v[120:121]                // 000000008BA8: D3B14078 1802F104
	v_pk_mul_f32 v[58:59], v[4:5], v[58:59]                    // 000000008BB0: D3B1403A 18027504
	v_pk_mul_f32 v[122:123], v[4:5], v[122:123]                // 000000008BB8: D3B1407A 1802F504
	v_pk_mul_f32 v[72:73], v[4:5], v[72:73]                    // 000000008BC0: D3B14048 18029104
	v_pk_mul_f32 v[136:137], v[4:5], v[136:137]                // 000000008BC8: D3B14088 18031104
	v_pk_mul_f32 v[74:75], v[4:5], v[74:75]                    // 000000008BD0: D3B1404A 18029504
	v_pk_mul_f32 v[138:139], v[4:5], v[138:139]                // 000000008BD8: D3B1408A 18031504
	v_pk_mul_f32 v[88:89], v[4:5], v[88:89]                    // 000000008BE0: D3B14058 1802B104
	v_pk_mul_f32 v[152:153], v[4:5], v[152:153]                // 000000008BE8: D3B14098 18033104
	v_pk_mul_f32 v[90:91], v[4:5], v[90:91]                    // 000000008BF0: D3B1405A 1802B504
	v_pk_mul_f32 v[154:155], v[4:5], v[154:155]                // 000000008BF8: D3B1409A 18033504
	v_pk_mul_f32 v[104:105], v[4:5], v[104:105]                // 000000008C00: D3B14068 1802D104
	v_pk_mul_f32 v[168:169], v[4:5], v[168:169]                // 000000008C08: D3B140A8 18035104
	v_pk_mul_f32 v[106:107], v[4:5], v[106:107]                // 000000008C10: D3B1406A 1802D504
	v_pk_mul_f32 v[170:171], v[4:5], v[170:171]                // 000000008C18: D3B140AA 18035504
	v_mov_b32_e32 v4, v33                                      // 000000008C20: 7E080321
	v_mov_b32_e32 v5, v4                                       // 000000008C24: 7E0A0304
	v_pk_mul_f32 v[60:61], v[4:5], v[60:61]                    // 000000008C28: D3B1403C 18027904
	v_pk_mul_f32 v[124:125], v[4:5], v[124:125]                // 000000008C30: D3B1407C 1802F904
	v_pk_mul_f32 v[62:63], v[4:5], v[62:63]                    // 000000008C38: D3B1403E 18027D04
	v_pk_mul_f32 v[126:127], v[4:5], v[126:127]                // 000000008C40: D3B1407E 1802FD04
	v_pk_mul_f32 v[76:77], v[4:5], v[76:77]                    // 000000008C48: D3B1404C 18029904
	v_pk_mul_f32 v[140:141], v[4:5], v[140:141]                // 000000008C50: D3B1408C 18031904
	v_pk_mul_f32 v[78:79], v[4:5], v[78:79]                    // 000000008C58: D3B1404E 18029D04
	v_pk_mul_f32 v[142:143], v[4:5], v[142:143]                // 000000008C60: D3B1408E 18031D04
	v_pk_mul_f32 v[92:93], v[4:5], v[92:93]                    // 000000008C68: D3B1405C 1802B904
	v_pk_mul_f32 v[156:157], v[4:5], v[156:157]                // 000000008C70: D3B1409C 18033904
	v_pk_mul_f32 v[94:95], v[4:5], v[94:95]                    // 000000008C78: D3B1405E 1802BD04
	v_pk_mul_f32 v[158:159], v[4:5], v[158:159]                // 000000008C80: D3B1409E 18033D04
	v_pk_mul_f32 v[108:109], v[4:5], v[108:109]                // 000000008C88: D3B1406C 1802D904
	v_pk_mul_f32 v[172:173], v[4:5], v[172:173]                // 000000008C90: D3B140AC 18035904
	v_pk_mul_f32 v[110:111], v[4:5], v[110:111]                // 000000008C98: D3B1406E 1802DD04
	v_pk_mul_f32 v[174:175], v[4:5], v[174:175]                // 000000008CA0: D3B140AE 18035D04
	v_mov_b32_e32 v4, v34                                      // 000000008CA8: 7E080322
	v_mov_b32_e32 v5, v4                                       // 000000008CAC: 7E0A0304
	v_pk_mul_f32 v[64:65], v[4:5], v[64:65]                    // 000000008CB0: D3B14040 18028104
	v_pk_mul_f32 v[128:129], v[4:5], v[128:129]                // 000000008CB8: D3B14080 18030104
	v_pk_mul_f32 v[66:67], v[4:5], v[66:67]                    // 000000008CC0: D3B14042 18028504
	v_pk_mul_f32 v[130:131], v[4:5], v[130:131]                // 000000008CC8: D3B14082 18030504
	v_pk_mul_f32 v[80:81], v[4:5], v[80:81]                    // 000000008CD0: D3B14050 1802A104
	v_pk_mul_f32 v[144:145], v[4:5], v[144:145]                // 000000008CD8: D3B14090 18032104
	v_pk_mul_f32 v[82:83], v[4:5], v[82:83]                    // 000000008CE0: D3B14052 1802A504
	v_pk_mul_f32 v[146:147], v[4:5], v[146:147]                // 000000008CE8: D3B14092 18032504
	v_pk_mul_f32 v[96:97], v[4:5], v[96:97]                    // 000000008CF0: D3B14060 1802C104
	v_pk_mul_f32 v[160:161], v[4:5], v[160:161]                // 000000008CF8: D3B140A0 18034104
	v_pk_mul_f32 v[98:99], v[4:5], v[98:99]                    // 000000008D00: D3B14062 1802C504
	v_pk_mul_f32 v[162:163], v[4:5], v[162:163]                // 000000008D08: D3B140A2 18034504
	v_pk_mul_f32 v[112:113], v[4:5], v[112:113]                // 000000008D10: D3B14070 1802E104
	v_pk_mul_f32 v[176:177], v[4:5], v[176:177]                // 000000008D18: D3B140B0 18036104
	v_pk_mul_f32 v[114:115], v[4:5], v[114:115]                // 000000008D20: D3B14072 1802E504
	v_pk_mul_f32 v[178:179], v[4:5], v[178:179]                // 000000008D28: D3B140B2 18036504
	v_mov_b32_e32 v4, v35                                      // 000000008D30: 7E080323
	v_mov_b32_e32 v5, v4                                       // 000000008D34: 7E0A0304
	v_pk_mul_f32 v[68:69], v[4:5], v[68:69]                    // 000000008D38: D3B14044 18028904
	v_pk_mul_f32 v[132:133], v[4:5], v[132:133]                // 000000008D40: D3B14084 18030904
	v_pk_mul_f32 v[70:71], v[4:5], v[70:71]                    // 000000008D48: D3B14046 18028D04
	v_pk_mul_f32 v[134:135], v[4:5], v[134:135]                // 000000008D50: D3B14086 18030D04
	v_pk_mul_f32 v[84:85], v[4:5], v[84:85]                    // 000000008D58: D3B14054 1802A904
	v_pk_mul_f32 v[148:149], v[4:5], v[148:149]                // 000000008D60: D3B14094 18032904
	v_pk_mul_f32 v[86:87], v[4:5], v[86:87]                    // 000000008D68: D3B14056 1802AD04
	v_pk_mul_f32 v[150:151], v[4:5], v[150:151]                // 000000008D70: D3B14096 18032D04
	v_pk_mul_f32 v[100:101], v[4:5], v[100:101]                // 000000008D78: D3B14064 1802C904
	v_pk_mul_f32 v[164:165], v[4:5], v[164:165]                // 000000008D80: D3B140A4 18034904
	v_pk_mul_f32 v[102:103], v[4:5], v[102:103]                // 000000008D88: D3B14066 1802CD04
	v_pk_mul_f32 v[166:167], v[4:5], v[166:167]                // 000000008D90: D3B140A6 18034D04
	v_pk_mul_f32 v[116:117], v[4:5], v[116:117]                // 000000008D98: D3B14074 1802E904
	v_pk_mul_f32 v[180:181], v[4:5], v[180:181]                // 000000008DA0: D3B140B4 18036904
	v_pk_mul_f32 v[118:119], v[4:5], v[118:119]                // 000000008DA8: D3B14076 1802ED04
	v_pk_mul_f32 v[182:183], v[4:5], v[182:183]                // 000000008DB0: D3B140B6 18036D04
	s_cmp_eq_u32 s88, 0                                        // 000000008DB8: BF068058
	s_cbranch_scc0 label_2124                                  // 000000008DBC: BF840831
	s_cmp_eq_u32 s89, 0                                        // 000000008DC0: BF068059
	s_cbranch_scc1 label_1B7A                                  // 000000008DC4: BF850285
	v_mov_b32_e32 v8, v1                                       // 000000008DC8: 7E100301
	v_mov_b32_e32 v9, v1                                       // 000000008DCC: 7E120301
	s_mov_b32 s60, s6                                          // 000000008DD0: BEBC0006
	s_mov_b32 s61, s6                                          // 000000008DD4: BEBD0006
	v_pk_mul_f32 v[4:5], v[56:57], v[56:57]                    // 000000008DD8: D3B14004 18027138
	v_pk_mul_f32 v[6:7], v[58:59], v[58:59]                    // 000000008DE0: D3B14006 1802753A
	v_pk_fma_f32 v[4:5], v[4:5], s[78:79], v[8:9]              // 000000008DE8: D3B04004 1C209D04
	v_pk_fma_f32 v[6:7], v[6:7], s[78:79], v[8:9]              // 000000008DF0: D3B04006 1C209D06
	v_pk_mul_f32 v[4:5], v[4:5], v[56:57]                      // 000000008DF8: D3B14004 18027104
	v_pk_mul_f32 v[6:7], v[6:7], v[58:59]                      // 000000008E00: D3B14006 18027506
	v_pk_mul_f32 v[4:5], v[4:5], s[60:61]                      // 000000008E08: D3B14004 18007904
	v_pk_mul_f32 v[6:7], v[6:7], s[60:61]                      // 000000008E10: D3B14006 18007906
	v_exp_f32_e32 v4, v4                                       // 000000008E18: 7E084104
	v_exp_f32_e32 v5, v5                                       // 000000008E1C: 7E0A4105
	v_exp_f32_e32 v6, v6                                       // 000000008E20: 7E0C4106
	v_exp_f32_e32 v7, v7                                       // 000000008E24: 7E0E4107
	v_add_f32_e64 v4, v4, 1.0                                  // 000000008E28: D1010004 0001E504
	v_add_f32_e64 v5, v5, 1.0                                  // 000000008E30: D1010005 0001E505
	v_add_f32_e64 v6, v6, 1.0                                  // 000000008E38: D1010006 0001E506
	v_add_f32_e64 v7, v7, 1.0                                  // 000000008E40: D1010007 0001E507
	v_rcp_f32_e32 v4, v4                                       // 000000008E48: 7E084504
	v_rcp_f32_e32 v5, v5                                       // 000000008E4C: 7E0A4505
	v_rcp_f32_e32 v6, v6                                       // 000000008E50: 7E0C4506
	v_rcp_f32_e32 v7, v7                                       // 000000008E54: 7E0E4507
	v_mul_f32_e32 v56, v56, v4                                 // 000000008E58: 0A700938
	v_mul_f32_e32 v57, v57, v5                                 // 000000008E5C: 0A720B39
	v_mul_f32_e32 v58, v58, v6                                 // 000000008E60: 0A740D3A
	v_mul_f32_e32 v59, v59, v7                                 // 000000008E64: 0A760F3B
	v_mul_f32_e32 v56, v56, v120                               // 000000008E68: 0A70F138
	v_mul_f32_e32 v57, v57, v121                               // 000000008E6C: 0A72F339
	v_mul_f32_e32 v58, v58, v122                               // 000000008E70: 0A74F53A
	v_mul_f32_e32 v59, v59, v123                               // 000000008E74: 0A76F73B
	v_pk_mul_f32 v[4:5], v[60:61], v[60:61]                    // 000000008E78: D3B14004 1802793C
	v_pk_mul_f32 v[6:7], v[62:63], v[62:63]                    // 000000008E80: D3B14006 18027D3E
	v_pk_fma_f32 v[4:5], v[4:5], s[78:79], v[8:9]              // 000000008E88: D3B04004 1C209D04
	v_pk_fma_f32 v[6:7], v[6:7], s[78:79], v[8:9]              // 000000008E90: D3B04006 1C209D06
	v_pk_mul_f32 v[4:5], v[4:5], v[60:61]                      // 000000008E98: D3B14004 18027904
	v_pk_mul_f32 v[6:7], v[6:7], v[62:63]                      // 000000008EA0: D3B14006 18027D06
	v_pk_mul_f32 v[4:5], v[4:5], s[60:61]                      // 000000008EA8: D3B14004 18007904
	v_pk_mul_f32 v[6:7], v[6:7], s[60:61]                      // 000000008EB0: D3B14006 18007906
	v_exp_f32_e32 v4, v4                                       // 000000008EB8: 7E084104
	v_exp_f32_e32 v5, v5                                       // 000000008EBC: 7E0A4105
	v_exp_f32_e32 v6, v6                                       // 000000008EC0: 7E0C4106
	v_exp_f32_e32 v7, v7                                       // 000000008EC4: 7E0E4107
	v_add_f32_e64 v4, v4, 1.0                                  // 000000008EC8: D1010004 0001E504
	v_add_f32_e64 v5, v5, 1.0                                  // 000000008ED0: D1010005 0001E505
	v_add_f32_e64 v6, v6, 1.0                                  // 000000008ED8: D1010006 0001E506
	v_add_f32_e64 v7, v7, 1.0                                  // 000000008EE0: D1010007 0001E507
	v_rcp_f32_e32 v4, v4                                       // 000000008EE8: 7E084504
	v_rcp_f32_e32 v5, v5                                       // 000000008EEC: 7E0A4505
	v_rcp_f32_e32 v6, v6                                       // 000000008EF0: 7E0C4506
	v_rcp_f32_e32 v7, v7                                       // 000000008EF4: 7E0E4507
	v_mul_f32_e32 v60, v60, v4                                 // 000000008EF8: 0A78093C
	v_mul_f32_e32 v61, v61, v5                                 // 000000008EFC: 0A7A0B3D
	v_mul_f32_e32 v62, v62, v6                                 // 000000008F00: 0A7C0D3E
	v_mul_f32_e32 v63, v63, v7                                 // 000000008F04: 0A7E0F3F
	v_mul_f32_e32 v60, v60, v124                               // 000000008F08: 0A78F93C
	v_mul_f32_e32 v61, v61, v125                               // 000000008F0C: 0A7AFB3D
	v_mul_f32_e32 v62, v62, v126                               // 000000008F10: 0A7CFD3E
	v_mul_f32_e32 v63, v63, v127                               // 000000008F14: 0A7EFF3F
	v_pk_mul_f32 v[4:5], v[64:65], v[64:65]                    // 000000008F18: D3B14004 18028140
	v_pk_mul_f32 v[6:7], v[66:67], v[66:67]                    // 000000008F20: D3B14006 18028542
	v_pk_fma_f32 v[4:5], v[4:5], s[78:79], v[8:9]              // 000000008F28: D3B04004 1C209D04
	v_pk_fma_f32 v[6:7], v[6:7], s[78:79], v[8:9]              // 000000008F30: D3B04006 1C209D06
	v_pk_mul_f32 v[4:5], v[4:5], v[64:65]                      // 000000008F38: D3B14004 18028104
	v_pk_mul_f32 v[6:7], v[6:7], v[66:67]                      // 000000008F40: D3B14006 18028506
	v_pk_mul_f32 v[4:5], v[4:5], s[60:61]                      // 000000008F48: D3B14004 18007904
	v_pk_mul_f32 v[6:7], v[6:7], s[60:61]                      // 000000008F50: D3B14006 18007906
	v_exp_f32_e32 v4, v4                                       // 000000008F58: 7E084104
	v_exp_f32_e32 v5, v5                                       // 000000008F5C: 7E0A4105
	v_exp_f32_e32 v6, v6                                       // 000000008F60: 7E0C4106
	v_exp_f32_e32 v7, v7                                       // 000000008F64: 7E0E4107
	v_add_f32_e64 v4, v4, 1.0                                  // 000000008F68: D1010004 0001E504
	v_add_f32_e64 v5, v5, 1.0                                  // 000000008F70: D1010005 0001E505
	v_add_f32_e64 v6, v6, 1.0                                  // 000000008F78: D1010006 0001E506
	v_add_f32_e64 v7, v7, 1.0                                  // 000000008F80: D1010007 0001E507
	v_rcp_f32_e32 v4, v4                                       // 000000008F88: 7E084504
	v_rcp_f32_e32 v5, v5                                       // 000000008F8C: 7E0A4505
	v_rcp_f32_e32 v6, v6                                       // 000000008F90: 7E0C4506
	v_rcp_f32_e32 v7, v7                                       // 000000008F94: 7E0E4507
	v_mul_f32_e32 v64, v64, v4                                 // 000000008F98: 0A800940
	v_mul_f32_e32 v65, v65, v5                                 // 000000008F9C: 0A820B41
	v_mul_f32_e32 v66, v66, v6                                 // 000000008FA0: 0A840D42
	v_mul_f32_e32 v67, v67, v7                                 // 000000008FA4: 0A860F43
	v_mul_f32_e32 v64, v64, v128                               // 000000008FA8: 0A810140
	v_mul_f32_e32 v65, v65, v129                               // 000000008FAC: 0A830341
	v_mul_f32_e32 v66, v66, v130                               // 000000008FB0: 0A850542
	v_mul_f32_e32 v67, v67, v131                               // 000000008FB4: 0A870743
	v_pk_mul_f32 v[4:5], v[68:69], v[68:69]                    // 000000008FB8: D3B14004 18028944
	v_pk_mul_f32 v[6:7], v[70:71], v[70:71]                    // 000000008FC0: D3B14006 18028D46
	v_pk_fma_f32 v[4:5], v[4:5], s[78:79], v[8:9]              // 000000008FC8: D3B04004 1C209D04
	v_pk_fma_f32 v[6:7], v[6:7], s[78:79], v[8:9]              // 000000008FD0: D3B04006 1C209D06
	v_pk_mul_f32 v[4:5], v[4:5], v[68:69]                      // 000000008FD8: D3B14004 18028904
	v_pk_mul_f32 v[6:7], v[6:7], v[70:71]                      // 000000008FE0: D3B14006 18028D06
	v_pk_mul_f32 v[4:5], v[4:5], s[60:61]                      // 000000008FE8: D3B14004 18007904
	v_pk_mul_f32 v[6:7], v[6:7], s[60:61]                      // 000000008FF0: D3B14006 18007906
	v_exp_f32_e32 v4, v4                                       // 000000008FF8: 7E084104
	v_exp_f32_e32 v5, v5                                       // 000000008FFC: 7E0A4105
	v_exp_f32_e32 v6, v6                                       // 000000009000: 7E0C4106
	v_exp_f32_e32 v7, v7                                       // 000000009004: 7E0E4107
	v_add_f32_e64 v4, v4, 1.0                                  // 000000009008: D1010004 0001E504
	v_add_f32_e64 v5, v5, 1.0                                  // 000000009010: D1010005 0001E505
	v_add_f32_e64 v6, v6, 1.0                                  // 000000009018: D1010006 0001E506
	v_add_f32_e64 v7, v7, 1.0                                  // 000000009020: D1010007 0001E507
	v_rcp_f32_e32 v4, v4                                       // 000000009028: 7E084504
	v_rcp_f32_e32 v5, v5                                       // 00000000902C: 7E0A4505
	v_rcp_f32_e32 v6, v6                                       // 000000009030: 7E0C4506
	v_rcp_f32_e32 v7, v7                                       // 000000009034: 7E0E4507
	v_mul_f32_e32 v68, v68, v4                                 // 000000009038: 0A880944
	v_mul_f32_e32 v69, v69, v5                                 // 00000000903C: 0A8A0B45
	v_mul_f32_e32 v70, v70, v6                                 // 000000009040: 0A8C0D46
	v_mul_f32_e32 v71, v71, v7                                 // 000000009044: 0A8E0F47
	v_mul_f32_e32 v68, v68, v132                               // 000000009048: 0A890944
	v_mul_f32_e32 v69, v69, v133                               // 00000000904C: 0A8B0B45
	v_mul_f32_e32 v70, v70, v134                               // 000000009050: 0A8D0D46
	v_mul_f32_e32 v71, v71, v135                               // 000000009054: 0A8F0F47
	v_pk_mul_f32 v[4:5], v[72:73], v[72:73]                    // 000000009058: D3B14004 18029148
	v_pk_mul_f32 v[6:7], v[74:75], v[74:75]                    // 000000009060: D3B14006 1802954A
	v_pk_fma_f32 v[4:5], v[4:5], s[78:79], v[8:9]              // 000000009068: D3B04004 1C209D04
	v_pk_fma_f32 v[6:7], v[6:7], s[78:79], v[8:9]              // 000000009070: D3B04006 1C209D06
	v_pk_mul_f32 v[4:5], v[4:5], v[72:73]                      // 000000009078: D3B14004 18029104
	v_pk_mul_f32 v[6:7], v[6:7], v[74:75]                      // 000000009080: D3B14006 18029506
	v_pk_mul_f32 v[4:5], v[4:5], s[60:61]                      // 000000009088: D3B14004 18007904
	v_pk_mul_f32 v[6:7], v[6:7], s[60:61]                      // 000000009090: D3B14006 18007906
	v_exp_f32_e32 v4, v4                                       // 000000009098: 7E084104
	v_exp_f32_e32 v5, v5                                       // 00000000909C: 7E0A4105
	v_exp_f32_e32 v6, v6                                       // 0000000090A0: 7E0C4106
	v_exp_f32_e32 v7, v7                                       // 0000000090A4: 7E0E4107
	v_add_f32_e64 v4, v4, 1.0                                  // 0000000090A8: D1010004 0001E504
	v_add_f32_e64 v5, v5, 1.0                                  // 0000000090B0: D1010005 0001E505
	v_add_f32_e64 v6, v6, 1.0                                  // 0000000090B8: D1010006 0001E506
	v_add_f32_e64 v7, v7, 1.0                                  // 0000000090C0: D1010007 0001E507
	v_rcp_f32_e32 v4, v4                                       // 0000000090C8: 7E084504
	v_rcp_f32_e32 v5, v5                                       // 0000000090CC: 7E0A4505
	v_rcp_f32_e32 v6, v6                                       // 0000000090D0: 7E0C4506
	v_rcp_f32_e32 v7, v7                                       // 0000000090D4: 7E0E4507
	v_mul_f32_e32 v72, v72, v4                                 // 0000000090D8: 0A900948
	v_mul_f32_e32 v73, v73, v5                                 // 0000000090DC: 0A920B49
	v_mul_f32_e32 v74, v74, v6                                 // 0000000090E0: 0A940D4A
	v_mul_f32_e32 v75, v75, v7                                 // 0000000090E4: 0A960F4B
	v_mul_f32_e32 v72, v72, v136                               // 0000000090E8: 0A911148
	v_mul_f32_e32 v73, v73, v137                               // 0000000090EC: 0A931349
	v_mul_f32_e32 v74, v74, v138                               // 0000000090F0: 0A95154A
	v_mul_f32_e32 v75, v75, v139                               // 0000000090F4: 0A97174B
	v_pk_mul_f32 v[4:5], v[76:77], v[76:77]                    // 0000000090F8: D3B14004 1802994C
	v_pk_mul_f32 v[6:7], v[78:79], v[78:79]                    // 000000009100: D3B14006 18029D4E
	v_pk_fma_f32 v[4:5], v[4:5], s[78:79], v[8:9]              // 000000009108: D3B04004 1C209D04
	v_pk_fma_f32 v[6:7], v[6:7], s[78:79], v[8:9]              // 000000009110: D3B04006 1C209D06
	v_pk_mul_f32 v[4:5], v[4:5], v[76:77]                      // 000000009118: D3B14004 18029904
	v_pk_mul_f32 v[6:7], v[6:7], v[78:79]                      // 000000009120: D3B14006 18029D06
	v_pk_mul_f32 v[4:5], v[4:5], s[60:61]                      // 000000009128: D3B14004 18007904
	v_pk_mul_f32 v[6:7], v[6:7], s[60:61]                      // 000000009130: D3B14006 18007906
	v_exp_f32_e32 v4, v4                                       // 000000009138: 7E084104
	v_exp_f32_e32 v5, v5                                       // 00000000913C: 7E0A4105
	v_exp_f32_e32 v6, v6                                       // 000000009140: 7E0C4106
	v_exp_f32_e32 v7, v7                                       // 000000009144: 7E0E4107
	v_add_f32_e64 v4, v4, 1.0                                  // 000000009148: D1010004 0001E504
	v_add_f32_e64 v5, v5, 1.0                                  // 000000009150: D1010005 0001E505
	v_add_f32_e64 v6, v6, 1.0                                  // 000000009158: D1010006 0001E506
	v_add_f32_e64 v7, v7, 1.0                                  // 000000009160: D1010007 0001E507
	v_rcp_f32_e32 v4, v4                                       // 000000009168: 7E084504
	v_rcp_f32_e32 v5, v5                                       // 00000000916C: 7E0A4505
	v_rcp_f32_e32 v6, v6                                       // 000000009170: 7E0C4506
	v_rcp_f32_e32 v7, v7                                       // 000000009174: 7E0E4507
	v_mul_f32_e32 v76, v76, v4                                 // 000000009178: 0A98094C
	v_mul_f32_e32 v77, v77, v5                                 // 00000000917C: 0A9A0B4D
	v_mul_f32_e32 v78, v78, v6                                 // 000000009180: 0A9C0D4E
	v_mul_f32_e32 v79, v79, v7                                 // 000000009184: 0A9E0F4F
	v_mul_f32_e32 v76, v76, v140                               // 000000009188: 0A99194C
	v_mul_f32_e32 v77, v77, v141                               // 00000000918C: 0A9B1B4D
	v_mul_f32_e32 v78, v78, v142                               // 000000009190: 0A9D1D4E
	v_mul_f32_e32 v79, v79, v143                               // 000000009194: 0A9F1F4F
	v_pk_mul_f32 v[4:5], v[80:81], v[80:81]                    // 000000009198: D3B14004 1802A150
	v_pk_mul_f32 v[6:7], v[82:83], v[82:83]                    // 0000000091A0: D3B14006 1802A552
	v_pk_fma_f32 v[4:5], v[4:5], s[78:79], v[8:9]              // 0000000091A8: D3B04004 1C209D04
	v_pk_fma_f32 v[6:7], v[6:7], s[78:79], v[8:9]              // 0000000091B0: D3B04006 1C209D06
	v_pk_mul_f32 v[4:5], v[4:5], v[80:81]                      // 0000000091B8: D3B14004 1802A104
	v_pk_mul_f32 v[6:7], v[6:7], v[82:83]                      // 0000000091C0: D3B14006 1802A506
	v_pk_mul_f32 v[4:5], v[4:5], s[60:61]                      // 0000000091C8: D3B14004 18007904
	v_pk_mul_f32 v[6:7], v[6:7], s[60:61]                      // 0000000091D0: D3B14006 18007906
	v_exp_f32_e32 v4, v4                                       // 0000000091D8: 7E084104
	v_exp_f32_e32 v5, v5                                       // 0000000091DC: 7E0A4105
	v_exp_f32_e32 v6, v6                                       // 0000000091E0: 7E0C4106
	v_exp_f32_e32 v7, v7                                       // 0000000091E4: 7E0E4107
	v_add_f32_e64 v4, v4, 1.0                                  // 0000000091E8: D1010004 0001E504
	v_add_f32_e64 v5, v5, 1.0                                  // 0000000091F0: D1010005 0001E505
	v_add_f32_e64 v6, v6, 1.0                                  // 0000000091F8: D1010006 0001E506
	v_add_f32_e64 v7, v7, 1.0                                  // 000000009200: D1010007 0001E507
	v_rcp_f32_e32 v4, v4                                       // 000000009208: 7E084504
	v_rcp_f32_e32 v5, v5                                       // 00000000920C: 7E0A4505
	v_rcp_f32_e32 v6, v6                                       // 000000009210: 7E0C4506
	v_rcp_f32_e32 v7, v7                                       // 000000009214: 7E0E4507
	v_mul_f32_e32 v80, v80, v4                                 // 000000009218: 0AA00950
	v_mul_f32_e32 v81, v81, v5                                 // 00000000921C: 0AA20B51
	v_mul_f32_e32 v82, v82, v6                                 // 000000009220: 0AA40D52
	v_mul_f32_e32 v83, v83, v7                                 // 000000009224: 0AA60F53
	v_mul_f32_e32 v80, v80, v144                               // 000000009228: 0AA12150
	v_mul_f32_e32 v81, v81, v145                               // 00000000922C: 0AA32351
	v_mul_f32_e32 v82, v82, v146                               // 000000009230: 0AA52552
	v_mul_f32_e32 v83, v83, v147                               // 000000009234: 0AA72753
	v_pk_mul_f32 v[4:5], v[84:85], v[84:85]                    // 000000009238: D3B14004 1802A954
	v_pk_mul_f32 v[6:7], v[86:87], v[86:87]                    // 000000009240: D3B14006 1802AD56
	v_pk_fma_f32 v[4:5], v[4:5], s[78:79], v[8:9]              // 000000009248: D3B04004 1C209D04
	v_pk_fma_f32 v[6:7], v[6:7], s[78:79], v[8:9]              // 000000009250: D3B04006 1C209D06
	v_pk_mul_f32 v[4:5], v[4:5], v[84:85]                      // 000000009258: D3B14004 1802A904
	v_pk_mul_f32 v[6:7], v[6:7], v[86:87]                      // 000000009260: D3B14006 1802AD06
	v_pk_mul_f32 v[4:5], v[4:5], s[60:61]                      // 000000009268: D3B14004 18007904
	v_pk_mul_f32 v[6:7], v[6:7], s[60:61]                      // 000000009270: D3B14006 18007906
	v_exp_f32_e32 v4, v4                                       // 000000009278: 7E084104
	v_exp_f32_e32 v5, v5                                       // 00000000927C: 7E0A4105
	v_exp_f32_e32 v6, v6                                       // 000000009280: 7E0C4106
	v_exp_f32_e32 v7, v7                                       // 000000009284: 7E0E4107
	v_add_f32_e64 v4, v4, 1.0                                  // 000000009288: D1010004 0001E504
	v_add_f32_e64 v5, v5, 1.0                                  // 000000009290: D1010005 0001E505
	v_add_f32_e64 v6, v6, 1.0                                  // 000000009298: D1010006 0001E506
	v_add_f32_e64 v7, v7, 1.0                                  // 0000000092A0: D1010007 0001E507
	v_rcp_f32_e32 v4, v4                                       // 0000000092A8: 7E084504
	v_rcp_f32_e32 v5, v5                                       // 0000000092AC: 7E0A4505
	v_rcp_f32_e32 v6, v6                                       // 0000000092B0: 7E0C4506
	v_rcp_f32_e32 v7, v7                                       // 0000000092B4: 7E0E4507
	v_mul_f32_e32 v84, v84, v4                                 // 0000000092B8: 0AA80954
	v_mul_f32_e32 v85, v85, v5                                 // 0000000092BC: 0AAA0B55
	v_mul_f32_e32 v86, v86, v6                                 // 0000000092C0: 0AAC0D56
	v_mul_f32_e32 v87, v87, v7                                 // 0000000092C4: 0AAE0F57
	v_mul_f32_e32 v84, v84, v148                               // 0000000092C8: 0AA92954
	v_mul_f32_e32 v85, v85, v149                               // 0000000092CC: 0AAB2B55
	v_mul_f32_e32 v86, v86, v150                               // 0000000092D0: 0AAD2D56
	v_mul_f32_e32 v87, v87, v151                               // 0000000092D4: 0AAF2F57
	v_pk_mul_f32 v[4:5], v[88:89], v[88:89]                    // 0000000092D8: D3B14004 1802B158
	v_pk_mul_f32 v[6:7], v[90:91], v[90:91]                    // 0000000092E0: D3B14006 1802B55A
	v_pk_fma_f32 v[4:5], v[4:5], s[78:79], v[8:9]              // 0000000092E8: D3B04004 1C209D04
	v_pk_fma_f32 v[6:7], v[6:7], s[78:79], v[8:9]              // 0000000092F0: D3B04006 1C209D06
	v_pk_mul_f32 v[4:5], v[4:5], v[88:89]                      // 0000000092F8: D3B14004 1802B104
	v_pk_mul_f32 v[6:7], v[6:7], v[90:91]                      // 000000009300: D3B14006 1802B506
	v_pk_mul_f32 v[4:5], v[4:5], s[60:61]                      // 000000009308: D3B14004 18007904
	v_pk_mul_f32 v[6:7], v[6:7], s[60:61]                      // 000000009310: D3B14006 18007906
	v_exp_f32_e32 v4, v4                                       // 000000009318: 7E084104
	v_exp_f32_e32 v5, v5                                       // 00000000931C: 7E0A4105
	v_exp_f32_e32 v6, v6                                       // 000000009320: 7E0C4106
	v_exp_f32_e32 v7, v7                                       // 000000009324: 7E0E4107
	v_add_f32_e64 v4, v4, 1.0                                  // 000000009328: D1010004 0001E504
	v_add_f32_e64 v5, v5, 1.0                                  // 000000009330: D1010005 0001E505
	v_add_f32_e64 v6, v6, 1.0                                  // 000000009338: D1010006 0001E506
	v_add_f32_e64 v7, v7, 1.0                                  // 000000009340: D1010007 0001E507
	v_rcp_f32_e32 v4, v4                                       // 000000009348: 7E084504
	v_rcp_f32_e32 v5, v5                                       // 00000000934C: 7E0A4505
	v_rcp_f32_e32 v6, v6                                       // 000000009350: 7E0C4506
	v_rcp_f32_e32 v7, v7                                       // 000000009354: 7E0E4507
	v_mul_f32_e32 v88, v88, v4                                 // 000000009358: 0AB00958
	v_mul_f32_e32 v89, v89, v5                                 // 00000000935C: 0AB20B59
	v_mul_f32_e32 v90, v90, v6                                 // 000000009360: 0AB40D5A
	v_mul_f32_e32 v91, v91, v7                                 // 000000009364: 0AB60F5B
	v_mul_f32_e32 v88, v88, v152                               // 000000009368: 0AB13158
	v_mul_f32_e32 v89, v89, v153                               // 00000000936C: 0AB33359
	v_mul_f32_e32 v90, v90, v154                               // 000000009370: 0AB5355A
	v_mul_f32_e32 v91, v91, v155                               // 000000009374: 0AB7375B
	v_pk_mul_f32 v[4:5], v[92:93], v[92:93]                    // 000000009378: D3B14004 1802B95C
	v_pk_mul_f32 v[6:7], v[94:95], v[94:95]                    // 000000009380: D3B14006 1802BD5E
	v_pk_fma_f32 v[4:5], v[4:5], s[78:79], v[8:9]              // 000000009388: D3B04004 1C209D04
	v_pk_fma_f32 v[6:7], v[6:7], s[78:79], v[8:9]              // 000000009390: D3B04006 1C209D06
	v_pk_mul_f32 v[4:5], v[4:5], v[92:93]                      // 000000009398: D3B14004 1802B904
	v_pk_mul_f32 v[6:7], v[6:7], v[94:95]                      // 0000000093A0: D3B14006 1802BD06
	v_pk_mul_f32 v[4:5], v[4:5], s[60:61]                      // 0000000093A8: D3B14004 18007904
	v_pk_mul_f32 v[6:7], v[6:7], s[60:61]                      // 0000000093B0: D3B14006 18007906
	v_exp_f32_e32 v4, v4                                       // 0000000093B8: 7E084104
	v_exp_f32_e32 v5, v5                                       // 0000000093BC: 7E0A4105
	v_exp_f32_e32 v6, v6                                       // 0000000093C0: 7E0C4106
	v_exp_f32_e32 v7, v7                                       // 0000000093C4: 7E0E4107
	v_add_f32_e64 v4, v4, 1.0                                  // 0000000093C8: D1010004 0001E504
	v_add_f32_e64 v5, v5, 1.0                                  // 0000000093D0: D1010005 0001E505
	v_add_f32_e64 v6, v6, 1.0                                  // 0000000093D8: D1010006 0001E506
	v_add_f32_e64 v7, v7, 1.0                                  // 0000000093E0: D1010007 0001E507
	v_rcp_f32_e32 v4, v4                                       // 0000000093E8: 7E084504
	v_rcp_f32_e32 v5, v5                                       // 0000000093EC: 7E0A4505
	v_rcp_f32_e32 v6, v6                                       // 0000000093F0: 7E0C4506
	v_rcp_f32_e32 v7, v7                                       // 0000000093F4: 7E0E4507
	v_mul_f32_e32 v92, v92, v4                                 // 0000000093F8: 0AB8095C
	v_mul_f32_e32 v93, v93, v5                                 // 0000000093FC: 0ABA0B5D
	v_mul_f32_e32 v94, v94, v6                                 // 000000009400: 0ABC0D5E
	v_mul_f32_e32 v95, v95, v7                                 // 000000009404: 0ABE0F5F
	v_mul_f32_e32 v92, v92, v156                               // 000000009408: 0AB9395C
	v_mul_f32_e32 v93, v93, v157                               // 00000000940C: 0ABB3B5D
	v_mul_f32_e32 v94, v94, v158                               // 000000009410: 0ABD3D5E
	v_mul_f32_e32 v95, v95, v159                               // 000000009414: 0ABF3F5F
	v_pk_mul_f32 v[4:5], v[96:97], v[96:97]                    // 000000009418: D3B14004 1802C160
	v_pk_mul_f32 v[6:7], v[98:99], v[98:99]                    // 000000009420: D3B14006 1802C562
	v_pk_fma_f32 v[4:5], v[4:5], s[78:79], v[8:9]              // 000000009428: D3B04004 1C209D04
	v_pk_fma_f32 v[6:7], v[6:7], s[78:79], v[8:9]              // 000000009430: D3B04006 1C209D06
	v_pk_mul_f32 v[4:5], v[4:5], v[96:97]                      // 000000009438: D3B14004 1802C104
	v_pk_mul_f32 v[6:7], v[6:7], v[98:99]                      // 000000009440: D3B14006 1802C506
	v_pk_mul_f32 v[4:5], v[4:5], s[60:61]                      // 000000009448: D3B14004 18007904
	v_pk_mul_f32 v[6:7], v[6:7], s[60:61]                      // 000000009450: D3B14006 18007906
	v_exp_f32_e32 v4, v4                                       // 000000009458: 7E084104
	v_exp_f32_e32 v5, v5                                       // 00000000945C: 7E0A4105
	v_exp_f32_e32 v6, v6                                       // 000000009460: 7E0C4106
	v_exp_f32_e32 v7, v7                                       // 000000009464: 7E0E4107
	v_add_f32_e64 v4, v4, 1.0                                  // 000000009468: D1010004 0001E504
	v_add_f32_e64 v5, v5, 1.0                                  // 000000009470: D1010005 0001E505
	v_add_f32_e64 v6, v6, 1.0                                  // 000000009478: D1010006 0001E506
	v_add_f32_e64 v7, v7, 1.0                                  // 000000009480: D1010007 0001E507
	v_rcp_f32_e32 v4, v4                                       // 000000009488: 7E084504
	v_rcp_f32_e32 v5, v5                                       // 00000000948C: 7E0A4505
	v_rcp_f32_e32 v6, v6                                       // 000000009490: 7E0C4506
	v_rcp_f32_e32 v7, v7                                       // 000000009494: 7E0E4507
	v_mul_f32_e32 v96, v96, v4                                 // 000000009498: 0AC00960
	v_mul_f32_e32 v97, v97, v5                                 // 00000000949C: 0AC20B61
	v_mul_f32_e32 v98, v98, v6                                 // 0000000094A0: 0AC40D62
	v_mul_f32_e32 v99, v99, v7                                 // 0000000094A4: 0AC60F63
	v_mul_f32_e32 v96, v96, v160                               // 0000000094A8: 0AC14160
	v_mul_f32_e32 v97, v97, v161                               // 0000000094AC: 0AC34361
	v_mul_f32_e32 v98, v98, v162                               // 0000000094B0: 0AC54562
	v_mul_f32_e32 v99, v99, v163                               // 0000000094B4: 0AC74763
	v_pk_mul_f32 v[4:5], v[100:101], v[100:101]                // 0000000094B8: D3B14004 1802C964
	v_pk_mul_f32 v[6:7], v[102:103], v[102:103]                // 0000000094C0: D3B14006 1802CD66
	v_pk_fma_f32 v[4:5], v[4:5], s[78:79], v[8:9]              // 0000000094C8: D3B04004 1C209D04
	v_pk_fma_f32 v[6:7], v[6:7], s[78:79], v[8:9]              // 0000000094D0: D3B04006 1C209D06
	v_pk_mul_f32 v[4:5], v[4:5], v[100:101]                    // 0000000094D8: D3B14004 1802C904
	v_pk_mul_f32 v[6:7], v[6:7], v[102:103]                    // 0000000094E0: D3B14006 1802CD06
	v_pk_mul_f32 v[4:5], v[4:5], s[60:61]                      // 0000000094E8: D3B14004 18007904
	v_pk_mul_f32 v[6:7], v[6:7], s[60:61]                      // 0000000094F0: D3B14006 18007906
	v_exp_f32_e32 v4, v4                                       // 0000000094F8: 7E084104
	v_exp_f32_e32 v5, v5                                       // 0000000094FC: 7E0A4105
	v_exp_f32_e32 v6, v6                                       // 000000009500: 7E0C4106
	v_exp_f32_e32 v7, v7                                       // 000000009504: 7E0E4107
	v_add_f32_e64 v4, v4, 1.0                                  // 000000009508: D1010004 0001E504
	v_add_f32_e64 v5, v5, 1.0                                  // 000000009510: D1010005 0001E505
	v_add_f32_e64 v6, v6, 1.0                                  // 000000009518: D1010006 0001E506
	v_add_f32_e64 v7, v7, 1.0                                  // 000000009520: D1010007 0001E507
	v_rcp_f32_e32 v4, v4                                       // 000000009528: 7E084504
	v_rcp_f32_e32 v5, v5                                       // 00000000952C: 7E0A4505
	v_rcp_f32_e32 v6, v6                                       // 000000009530: 7E0C4506
	v_rcp_f32_e32 v7, v7                                       // 000000009534: 7E0E4507
	v_mul_f32_e32 v100, v100, v4                               // 000000009538: 0AC80964
	v_mul_f32_e32 v101, v101, v5                               // 00000000953C: 0ACA0B65
	v_mul_f32_e32 v102, v102, v6                               // 000000009540: 0ACC0D66
	v_mul_f32_e32 v103, v103, v7                               // 000000009544: 0ACE0F67
	v_mul_f32_e32 v100, v100, v164                             // 000000009548: 0AC94964
	v_mul_f32_e32 v101, v101, v165                             // 00000000954C: 0ACB4B65
	v_mul_f32_e32 v102, v102, v166                             // 000000009550: 0ACD4D66
	v_mul_f32_e32 v103, v103, v167                             // 000000009554: 0ACF4F67
	v_pk_mul_f32 v[4:5], v[104:105], v[104:105]                // 000000009558: D3B14004 1802D168
	v_pk_mul_f32 v[6:7], v[106:107], v[106:107]                // 000000009560: D3B14006 1802D56A
	v_pk_fma_f32 v[4:5], v[4:5], s[78:79], v[8:9]              // 000000009568: D3B04004 1C209D04
	v_pk_fma_f32 v[6:7], v[6:7], s[78:79], v[8:9]              // 000000009570: D3B04006 1C209D06
	v_pk_mul_f32 v[4:5], v[4:5], v[104:105]                    // 000000009578: D3B14004 1802D104
	v_pk_mul_f32 v[6:7], v[6:7], v[106:107]                    // 000000009580: D3B14006 1802D506
	v_pk_mul_f32 v[4:5], v[4:5], s[60:61]                      // 000000009588: D3B14004 18007904
	v_pk_mul_f32 v[6:7], v[6:7], s[60:61]                      // 000000009590: D3B14006 18007906
	v_exp_f32_e32 v4, v4                                       // 000000009598: 7E084104
	v_exp_f32_e32 v5, v5                                       // 00000000959C: 7E0A4105
	v_exp_f32_e32 v6, v6                                       // 0000000095A0: 7E0C4106
	v_exp_f32_e32 v7, v7                                       // 0000000095A4: 7E0E4107
	v_add_f32_e64 v4, v4, 1.0                                  // 0000000095A8: D1010004 0001E504
	v_add_f32_e64 v5, v5, 1.0                                  // 0000000095B0: D1010005 0001E505
	v_add_f32_e64 v6, v6, 1.0                                  // 0000000095B8: D1010006 0001E506
	v_add_f32_e64 v7, v7, 1.0                                  // 0000000095C0: D1010007 0001E507
	v_rcp_f32_e32 v4, v4                                       // 0000000095C8: 7E084504
	v_rcp_f32_e32 v5, v5                                       // 0000000095CC: 7E0A4505
	v_rcp_f32_e32 v6, v6                                       // 0000000095D0: 7E0C4506
	v_rcp_f32_e32 v7, v7                                       // 0000000095D4: 7E0E4507
	v_mul_f32_e32 v104, v104, v4                               // 0000000095D8: 0AD00968
	v_mul_f32_e32 v105, v105, v5                               // 0000000095DC: 0AD20B69
	v_mul_f32_e32 v106, v106, v6                               // 0000000095E0: 0AD40D6A
	v_mul_f32_e32 v107, v107, v7                               // 0000000095E4: 0AD60F6B
	v_mul_f32_e32 v104, v104, v168                             // 0000000095E8: 0AD15168
	v_mul_f32_e32 v105, v105, v169                             // 0000000095EC: 0AD35369
	v_mul_f32_e32 v106, v106, v170                             // 0000000095F0: 0AD5556A
	v_mul_f32_e32 v107, v107, v171                             // 0000000095F4: 0AD7576B
	v_pk_mul_f32 v[4:5], v[108:109], v[108:109]                // 0000000095F8: D3B14004 1802D96C
	v_pk_mul_f32 v[6:7], v[110:111], v[110:111]                // 000000009600: D3B14006 1802DD6E
	v_pk_fma_f32 v[4:5], v[4:5], s[78:79], v[8:9]              // 000000009608: D3B04004 1C209D04
	v_pk_fma_f32 v[6:7], v[6:7], s[78:79], v[8:9]              // 000000009610: D3B04006 1C209D06
	v_pk_mul_f32 v[4:5], v[4:5], v[108:109]                    // 000000009618: D3B14004 1802D904
	v_pk_mul_f32 v[6:7], v[6:7], v[110:111]                    // 000000009620: D3B14006 1802DD06
	v_pk_mul_f32 v[4:5], v[4:5], s[60:61]                      // 000000009628: D3B14004 18007904
	v_pk_mul_f32 v[6:7], v[6:7], s[60:61]                      // 000000009630: D3B14006 18007906
	v_exp_f32_e32 v4, v4                                       // 000000009638: 7E084104
	v_exp_f32_e32 v5, v5                                       // 00000000963C: 7E0A4105
	v_exp_f32_e32 v6, v6                                       // 000000009640: 7E0C4106
	v_exp_f32_e32 v7, v7                                       // 000000009644: 7E0E4107
	v_add_f32_e64 v4, v4, 1.0                                  // 000000009648: D1010004 0001E504
	v_add_f32_e64 v5, v5, 1.0                                  // 000000009650: D1010005 0001E505
	v_add_f32_e64 v6, v6, 1.0                                  // 000000009658: D1010006 0001E506
	v_add_f32_e64 v7, v7, 1.0                                  // 000000009660: D1010007 0001E507
	v_rcp_f32_e32 v4, v4                                       // 000000009668: 7E084504
	v_rcp_f32_e32 v5, v5                                       // 00000000966C: 7E0A4505
	v_rcp_f32_e32 v6, v6                                       // 000000009670: 7E0C4506
	v_rcp_f32_e32 v7, v7                                       // 000000009674: 7E0E4507
	v_mul_f32_e32 v108, v108, v4                               // 000000009678: 0AD8096C
	v_mul_f32_e32 v109, v109, v5                               // 00000000967C: 0ADA0B6D
	v_mul_f32_e32 v110, v110, v6                               // 000000009680: 0ADC0D6E
	v_mul_f32_e32 v111, v111, v7                               // 000000009684: 0ADE0F6F
	v_mul_f32_e32 v108, v108, v172                             // 000000009688: 0AD9596C
	v_mul_f32_e32 v109, v109, v173                             // 00000000968C: 0ADB5B6D
	v_mul_f32_e32 v110, v110, v174                             // 000000009690: 0ADD5D6E
	v_mul_f32_e32 v111, v111, v175                             // 000000009694: 0ADF5F6F
	v_pk_mul_f32 v[4:5], v[112:113], v[112:113]                // 000000009698: D3B14004 1802E170
	v_pk_mul_f32 v[6:7], v[114:115], v[114:115]                // 0000000096A0: D3B14006 1802E572
	v_pk_fma_f32 v[4:5], v[4:5], s[78:79], v[8:9]              // 0000000096A8: D3B04004 1C209D04
	v_pk_fma_f32 v[6:7], v[6:7], s[78:79], v[8:9]              // 0000000096B0: D3B04006 1C209D06
	v_pk_mul_f32 v[4:5], v[4:5], v[112:113]                    // 0000000096B8: D3B14004 1802E104
	v_pk_mul_f32 v[6:7], v[6:7], v[114:115]                    // 0000000096C0: D3B14006 1802E506
	v_pk_mul_f32 v[4:5], v[4:5], s[60:61]                      // 0000000096C8: D3B14004 18007904
	v_pk_mul_f32 v[6:7], v[6:7], s[60:61]                      // 0000000096D0: D3B14006 18007906
	v_exp_f32_e32 v4, v4                                       // 0000000096D8: 7E084104
	v_exp_f32_e32 v5, v5                                       // 0000000096DC: 7E0A4105
	v_exp_f32_e32 v6, v6                                       // 0000000096E0: 7E0C4106
	v_exp_f32_e32 v7, v7                                       // 0000000096E4: 7E0E4107
	v_add_f32_e64 v4, v4, 1.0                                  // 0000000096E8: D1010004 0001E504
	v_add_f32_e64 v5, v5, 1.0                                  // 0000000096F0: D1010005 0001E505
	v_add_f32_e64 v6, v6, 1.0                                  // 0000000096F8: D1010006 0001E506
	v_add_f32_e64 v7, v7, 1.0                                  // 000000009700: D1010007 0001E507
	v_rcp_f32_e32 v4, v4                                       // 000000009708: 7E084504
	v_rcp_f32_e32 v5, v5                                       // 00000000970C: 7E0A4505
	v_rcp_f32_e32 v6, v6                                       // 000000009710: 7E0C4506
	v_rcp_f32_e32 v7, v7                                       // 000000009714: 7E0E4507
	v_mul_f32_e32 v112, v112, v4                               // 000000009718: 0AE00970
	v_mul_f32_e32 v113, v113, v5                               // 00000000971C: 0AE20B71
	v_mul_f32_e32 v114, v114, v6                               // 000000009720: 0AE40D72
	v_mul_f32_e32 v115, v115, v7                               // 000000009724: 0AE60F73
	v_mul_f32_e32 v112, v112, v176                             // 000000009728: 0AE16170
	v_mul_f32_e32 v113, v113, v177                             // 00000000972C: 0AE36371
	v_mul_f32_e32 v114, v114, v178                             // 000000009730: 0AE56572
	v_mul_f32_e32 v115, v115, v179                             // 000000009734: 0AE76773
	v_pk_mul_f32 v[4:5], v[116:117], v[116:117]                // 000000009738: D3B14004 1802E974
	v_pk_mul_f32 v[6:7], v[118:119], v[118:119]                // 000000009740: D3B14006 1802ED76
	v_pk_fma_f32 v[4:5], v[4:5], s[78:79], v[8:9]              // 000000009748: D3B04004 1C209D04
	v_pk_fma_f32 v[6:7], v[6:7], s[78:79], v[8:9]              // 000000009750: D3B04006 1C209D06
	v_pk_mul_f32 v[4:5], v[4:5], v[116:117]                    // 000000009758: D3B14004 1802E904
	v_pk_mul_f32 v[6:7], v[6:7], v[118:119]                    // 000000009760: D3B14006 1802ED06
	v_pk_mul_f32 v[4:5], v[4:5], s[60:61]                      // 000000009768: D3B14004 18007904
	v_pk_mul_f32 v[6:7], v[6:7], s[60:61]                      // 000000009770: D3B14006 18007906
	v_exp_f32_e32 v4, v4                                       // 000000009778: 7E084104
	v_exp_f32_e32 v5, v5                                       // 00000000977C: 7E0A4105
	v_exp_f32_e32 v6, v6                                       // 000000009780: 7E0C4106
	v_exp_f32_e32 v7, v7                                       // 000000009784: 7E0E4107
	v_add_f32_e64 v4, v4, 1.0                                  // 000000009788: D1010004 0001E504
	v_add_f32_e64 v5, v5, 1.0                                  // 000000009790: D1010005 0001E505
	v_add_f32_e64 v6, v6, 1.0                                  // 000000009798: D1010006 0001E506
	v_add_f32_e64 v7, v7, 1.0                                  // 0000000097A0: D1010007 0001E507
	v_rcp_f32_e32 v4, v4                                       // 0000000097A8: 7E084504
	v_rcp_f32_e32 v5, v5                                       // 0000000097AC: 7E0A4505
	v_rcp_f32_e32 v6, v6                                       // 0000000097B0: 7E0C4506
	v_rcp_f32_e32 v7, v7                                       // 0000000097B4: 7E0E4507
	v_mul_f32_e32 v116, v116, v4                               // 0000000097B8: 0AE80974
	v_mul_f32_e32 v117, v117, v5                               // 0000000097BC: 0AEA0B75
	v_mul_f32_e32 v118, v118, v6                               // 0000000097C0: 0AEC0D76
	v_mul_f32_e32 v119, v119, v7                               // 0000000097C4: 0AEE0F77
	v_mul_f32_e32 v116, v116, v180                             // 0000000097C8: 0AE96974
	v_mul_f32_e32 v117, v117, v181                             // 0000000097CC: 0AEB6B75
	v_mul_f32_e32 v118, v118, v182                             // 0000000097D0: 0AED6D76
	v_mul_f32_e32 v119, v119, v183                             // 0000000097D4: 0AEF6F77
	s_branch label_1D7A                                        // 0000000097D8: BF820200

00000000000097dc <label_1B7A>:
	v_mul_f32_e64 v4, -v56, s6                                 // 0000000097DC: D1050004 20000D38
	v_mul_f32_e64 v5, -v57, s6                                 // 0000000097E4: D1050005 20000D39
	v_mul_f32_e64 v6, -v58, s6                                 // 0000000097EC: D1050006 20000D3A
	v_mul_f32_e64 v7, -v59, s6                                 // 0000000097F4: D1050007 20000D3B
	v_exp_f32_e32 v4, v4                                       // 0000000097FC: 7E084104
	v_exp_f32_e32 v5, v5                                       // 000000009800: 7E0A4105
	v_exp_f32_e32 v6, v6                                       // 000000009804: 7E0C4106
	v_exp_f32_e32 v7, v7                                       // 000000009808: 7E0E4107
	v_add_f32_e64 v4, v4, 1.0                                  // 00000000980C: D1010004 0001E504
	v_add_f32_e64 v5, v5, 1.0                                  // 000000009814: D1010005 0001E505
	v_add_f32_e64 v6, v6, 1.0                                  // 00000000981C: D1010006 0001E506
	v_add_f32_e64 v7, v7, 1.0                                  // 000000009824: D1010007 0001E507
	v_rcp_f32_e32 v4, v4                                       // 00000000982C: 7E084504
	v_rcp_f32_e32 v5, v5                                       // 000000009830: 7E0A4505
	v_rcp_f32_e32 v6, v6                                       // 000000009834: 7E0C4506
	v_rcp_f32_e32 v7, v7                                       // 000000009838: 7E0E4507
	v_mul_f32_e32 v56, v56, v4                                 // 00000000983C: 0A700938
	v_mul_f32_e32 v57, v57, v5                                 // 000000009840: 0A720B39
	v_mul_f32_e32 v58, v58, v6                                 // 000000009844: 0A740D3A
	v_mul_f32_e32 v59, v59, v7                                 // 000000009848: 0A760F3B
	v_mul_f32_e32 v56, v56, v120                               // 00000000984C: 0A70F138
	v_mul_f32_e32 v57, v57, v121                               // 000000009850: 0A72F339
	v_mul_f32_e32 v58, v58, v122                               // 000000009854: 0A74F53A
	v_mul_f32_e32 v59, v59, v123                               // 000000009858: 0A76F73B
	v_mul_f32_e64 v4, -v60, s6                                 // 00000000985C: D1050004 20000D3C
	v_mul_f32_e64 v5, -v61, s6                                 // 000000009864: D1050005 20000D3D
	v_mul_f32_e64 v6, -v62, s6                                 // 00000000986C: D1050006 20000D3E
	v_mul_f32_e64 v7, -v63, s6                                 // 000000009874: D1050007 20000D3F
	v_exp_f32_e32 v4, v4                                       // 00000000987C: 7E084104
	v_exp_f32_e32 v5, v5                                       // 000000009880: 7E0A4105
	v_exp_f32_e32 v6, v6                                       // 000000009884: 7E0C4106
	v_exp_f32_e32 v7, v7                                       // 000000009888: 7E0E4107
	v_add_f32_e64 v4, v4, 1.0                                  // 00000000988C: D1010004 0001E504
	v_add_f32_e64 v5, v5, 1.0                                  // 000000009894: D1010005 0001E505
	v_add_f32_e64 v6, v6, 1.0                                  // 00000000989C: D1010006 0001E506
	v_add_f32_e64 v7, v7, 1.0                                  // 0000000098A4: D1010007 0001E507
	v_rcp_f32_e32 v4, v4                                       // 0000000098AC: 7E084504
	v_rcp_f32_e32 v5, v5                                       // 0000000098B0: 7E0A4505
	v_rcp_f32_e32 v6, v6                                       // 0000000098B4: 7E0C4506
	v_rcp_f32_e32 v7, v7                                       // 0000000098B8: 7E0E4507
	v_mul_f32_e32 v60, v60, v4                                 // 0000000098BC: 0A78093C
	v_mul_f32_e32 v61, v61, v5                                 // 0000000098C0: 0A7A0B3D
	v_mul_f32_e32 v62, v62, v6                                 // 0000000098C4: 0A7C0D3E
	v_mul_f32_e32 v63, v63, v7                                 // 0000000098C8: 0A7E0F3F
	v_mul_f32_e32 v60, v60, v124                               // 0000000098CC: 0A78F93C
	v_mul_f32_e32 v61, v61, v125                               // 0000000098D0: 0A7AFB3D
	v_mul_f32_e32 v62, v62, v126                               // 0000000098D4: 0A7CFD3E
	v_mul_f32_e32 v63, v63, v127                               // 0000000098D8: 0A7EFF3F
	v_mul_f32_e64 v4, -v64, s6                                 // 0000000098DC: D1050004 20000D40
	v_mul_f32_e64 v5, -v65, s6                                 // 0000000098E4: D1050005 20000D41
	v_mul_f32_e64 v6, -v66, s6                                 // 0000000098EC: D1050006 20000D42
	v_mul_f32_e64 v7, -v67, s6                                 // 0000000098F4: D1050007 20000D43
	v_exp_f32_e32 v4, v4                                       // 0000000098FC: 7E084104
	v_exp_f32_e32 v5, v5                                       // 000000009900: 7E0A4105
	v_exp_f32_e32 v6, v6                                       // 000000009904: 7E0C4106
	v_exp_f32_e32 v7, v7                                       // 000000009908: 7E0E4107
	v_add_f32_e64 v4, v4, 1.0                                  // 00000000990C: D1010004 0001E504
	v_add_f32_e64 v5, v5, 1.0                                  // 000000009914: D1010005 0001E505
	v_add_f32_e64 v6, v6, 1.0                                  // 00000000991C: D1010006 0001E506
	v_add_f32_e64 v7, v7, 1.0                                  // 000000009924: D1010007 0001E507
	v_rcp_f32_e32 v4, v4                                       // 00000000992C: 7E084504
	v_rcp_f32_e32 v5, v5                                       // 000000009930: 7E0A4505
	v_rcp_f32_e32 v6, v6                                       // 000000009934: 7E0C4506
	v_rcp_f32_e32 v7, v7                                       // 000000009938: 7E0E4507
	v_mul_f32_e32 v64, v64, v4                                 // 00000000993C: 0A800940
	v_mul_f32_e32 v65, v65, v5                                 // 000000009940: 0A820B41
	v_mul_f32_e32 v66, v66, v6                                 // 000000009944: 0A840D42
	v_mul_f32_e32 v67, v67, v7                                 // 000000009948: 0A860F43
	v_mul_f32_e32 v64, v64, v128                               // 00000000994C: 0A810140
	v_mul_f32_e32 v65, v65, v129                               // 000000009950: 0A830341
	v_mul_f32_e32 v66, v66, v130                               // 000000009954: 0A850542
	v_mul_f32_e32 v67, v67, v131                               // 000000009958: 0A870743
	v_mul_f32_e64 v4, -v68, s6                                 // 00000000995C: D1050004 20000D44
	v_mul_f32_e64 v5, -v69, s6                                 // 000000009964: D1050005 20000D45
	v_mul_f32_e64 v6, -v70, s6                                 // 00000000996C: D1050006 20000D46
	v_mul_f32_e64 v7, -v71, s6                                 // 000000009974: D1050007 20000D47
	v_exp_f32_e32 v4, v4                                       // 00000000997C: 7E084104
	v_exp_f32_e32 v5, v5                                       // 000000009980: 7E0A4105
	v_exp_f32_e32 v6, v6                                       // 000000009984: 7E0C4106
	v_exp_f32_e32 v7, v7                                       // 000000009988: 7E0E4107
	v_add_f32_e64 v4, v4, 1.0                                  // 00000000998C: D1010004 0001E504
	v_add_f32_e64 v5, v5, 1.0                                  // 000000009994: D1010005 0001E505
	v_add_f32_e64 v6, v6, 1.0                                  // 00000000999C: D1010006 0001E506
	v_add_f32_e64 v7, v7, 1.0                                  // 0000000099A4: D1010007 0001E507
	v_rcp_f32_e32 v4, v4                                       // 0000000099AC: 7E084504
	v_rcp_f32_e32 v5, v5                                       // 0000000099B0: 7E0A4505
	v_rcp_f32_e32 v6, v6                                       // 0000000099B4: 7E0C4506
	v_rcp_f32_e32 v7, v7                                       // 0000000099B8: 7E0E4507
	v_mul_f32_e32 v68, v68, v4                                 // 0000000099BC: 0A880944
	v_mul_f32_e32 v69, v69, v5                                 // 0000000099C0: 0A8A0B45
	v_mul_f32_e32 v70, v70, v6                                 // 0000000099C4: 0A8C0D46
	v_mul_f32_e32 v71, v71, v7                                 // 0000000099C8: 0A8E0F47
	v_mul_f32_e32 v68, v68, v132                               // 0000000099CC: 0A890944
	v_mul_f32_e32 v69, v69, v133                               // 0000000099D0: 0A8B0B45
	v_mul_f32_e32 v70, v70, v134                               // 0000000099D4: 0A8D0D46
	v_mul_f32_e32 v71, v71, v135                               // 0000000099D8: 0A8F0F47
	v_mul_f32_e64 v4, -v72, s6                                 // 0000000099DC: D1050004 20000D48
	v_mul_f32_e64 v5, -v73, s6                                 // 0000000099E4: D1050005 20000D49
	v_mul_f32_e64 v6, -v74, s6                                 // 0000000099EC: D1050006 20000D4A
	v_mul_f32_e64 v7, -v75, s6                                 // 0000000099F4: D1050007 20000D4B
	v_exp_f32_e32 v4, v4                                       // 0000000099FC: 7E084104
	v_exp_f32_e32 v5, v5                                       // 000000009A00: 7E0A4105
	v_exp_f32_e32 v6, v6                                       // 000000009A04: 7E0C4106
	v_exp_f32_e32 v7, v7                                       // 000000009A08: 7E0E4107
	v_add_f32_e64 v4, v4, 1.0                                  // 000000009A0C: D1010004 0001E504
	v_add_f32_e64 v5, v5, 1.0                                  // 000000009A14: D1010005 0001E505
	v_add_f32_e64 v6, v6, 1.0                                  // 000000009A1C: D1010006 0001E506
	v_add_f32_e64 v7, v7, 1.0                                  // 000000009A24: D1010007 0001E507
	v_rcp_f32_e32 v4, v4                                       // 000000009A2C: 7E084504
	v_rcp_f32_e32 v5, v5                                       // 000000009A30: 7E0A4505
	v_rcp_f32_e32 v6, v6                                       // 000000009A34: 7E0C4506
	v_rcp_f32_e32 v7, v7                                       // 000000009A38: 7E0E4507
	v_mul_f32_e32 v72, v72, v4                                 // 000000009A3C: 0A900948
	v_mul_f32_e32 v73, v73, v5                                 // 000000009A40: 0A920B49
	v_mul_f32_e32 v74, v74, v6                                 // 000000009A44: 0A940D4A
	v_mul_f32_e32 v75, v75, v7                                 // 000000009A48: 0A960F4B
	v_mul_f32_e32 v72, v72, v136                               // 000000009A4C: 0A911148
	v_mul_f32_e32 v73, v73, v137                               // 000000009A50: 0A931349
	v_mul_f32_e32 v74, v74, v138                               // 000000009A54: 0A95154A
	v_mul_f32_e32 v75, v75, v139                               // 000000009A58: 0A97174B
	v_mul_f32_e64 v4, -v76, s6                                 // 000000009A5C: D1050004 20000D4C
	v_mul_f32_e64 v5, -v77, s6                                 // 000000009A64: D1050005 20000D4D
	v_mul_f32_e64 v6, -v78, s6                                 // 000000009A6C: D1050006 20000D4E
	v_mul_f32_e64 v7, -v79, s6                                 // 000000009A74: D1050007 20000D4F
	v_exp_f32_e32 v4, v4                                       // 000000009A7C: 7E084104
	v_exp_f32_e32 v5, v5                                       // 000000009A80: 7E0A4105
	v_exp_f32_e32 v6, v6                                       // 000000009A84: 7E0C4106
	v_exp_f32_e32 v7, v7                                       // 000000009A88: 7E0E4107
	v_add_f32_e64 v4, v4, 1.0                                  // 000000009A8C: D1010004 0001E504
	v_add_f32_e64 v5, v5, 1.0                                  // 000000009A94: D1010005 0001E505
	v_add_f32_e64 v6, v6, 1.0                                  // 000000009A9C: D1010006 0001E506
	v_add_f32_e64 v7, v7, 1.0                                  // 000000009AA4: D1010007 0001E507
	v_rcp_f32_e32 v4, v4                                       // 000000009AAC: 7E084504
	v_rcp_f32_e32 v5, v5                                       // 000000009AB0: 7E0A4505
	v_rcp_f32_e32 v6, v6                                       // 000000009AB4: 7E0C4506
	v_rcp_f32_e32 v7, v7                                       // 000000009AB8: 7E0E4507
	v_mul_f32_e32 v76, v76, v4                                 // 000000009ABC: 0A98094C
	v_mul_f32_e32 v77, v77, v5                                 // 000000009AC0: 0A9A0B4D
	v_mul_f32_e32 v78, v78, v6                                 // 000000009AC4: 0A9C0D4E
	v_mul_f32_e32 v79, v79, v7                                 // 000000009AC8: 0A9E0F4F
	v_mul_f32_e32 v76, v76, v140                               // 000000009ACC: 0A99194C
	v_mul_f32_e32 v77, v77, v141                               // 000000009AD0: 0A9B1B4D
	v_mul_f32_e32 v78, v78, v142                               // 000000009AD4: 0A9D1D4E
	v_mul_f32_e32 v79, v79, v143                               // 000000009AD8: 0A9F1F4F
	v_mul_f32_e64 v4, -v80, s6                                 // 000000009ADC: D1050004 20000D50
	v_mul_f32_e64 v5, -v81, s6                                 // 000000009AE4: D1050005 20000D51
	v_mul_f32_e64 v6, -v82, s6                                 // 000000009AEC: D1050006 20000D52
	v_mul_f32_e64 v7, -v83, s6                                 // 000000009AF4: D1050007 20000D53
	v_exp_f32_e32 v4, v4                                       // 000000009AFC: 7E084104
	v_exp_f32_e32 v5, v5                                       // 000000009B00: 7E0A4105
	v_exp_f32_e32 v6, v6                                       // 000000009B04: 7E0C4106
	v_exp_f32_e32 v7, v7                                       // 000000009B08: 7E0E4107
	v_add_f32_e64 v4, v4, 1.0                                  // 000000009B0C: D1010004 0001E504
	v_add_f32_e64 v5, v5, 1.0                                  // 000000009B14: D1010005 0001E505
	v_add_f32_e64 v6, v6, 1.0                                  // 000000009B1C: D1010006 0001E506
	v_add_f32_e64 v7, v7, 1.0                                  // 000000009B24: D1010007 0001E507
	v_rcp_f32_e32 v4, v4                                       // 000000009B2C: 7E084504
	v_rcp_f32_e32 v5, v5                                       // 000000009B30: 7E0A4505
	v_rcp_f32_e32 v6, v6                                       // 000000009B34: 7E0C4506
	v_rcp_f32_e32 v7, v7                                       // 000000009B38: 7E0E4507
	v_mul_f32_e32 v80, v80, v4                                 // 000000009B3C: 0AA00950
	v_mul_f32_e32 v81, v81, v5                                 // 000000009B40: 0AA20B51
	v_mul_f32_e32 v82, v82, v6                                 // 000000009B44: 0AA40D52
	v_mul_f32_e32 v83, v83, v7                                 // 000000009B48: 0AA60F53
	v_mul_f32_e32 v80, v80, v144                               // 000000009B4C: 0AA12150
	v_mul_f32_e32 v81, v81, v145                               // 000000009B50: 0AA32351
	v_mul_f32_e32 v82, v82, v146                               // 000000009B54: 0AA52552
	v_mul_f32_e32 v83, v83, v147                               // 000000009B58: 0AA72753
	v_mul_f32_e64 v4, -v84, s6                                 // 000000009B5C: D1050004 20000D54
	v_mul_f32_e64 v5, -v85, s6                                 // 000000009B64: D1050005 20000D55
	v_mul_f32_e64 v6, -v86, s6                                 // 000000009B6C: D1050006 20000D56
	v_mul_f32_e64 v7, -v87, s6                                 // 000000009B74: D1050007 20000D57
	v_exp_f32_e32 v4, v4                                       // 000000009B7C: 7E084104
	v_exp_f32_e32 v5, v5                                       // 000000009B80: 7E0A4105
	v_exp_f32_e32 v6, v6                                       // 000000009B84: 7E0C4106
	v_exp_f32_e32 v7, v7                                       // 000000009B88: 7E0E4107
	v_add_f32_e64 v4, v4, 1.0                                  // 000000009B8C: D1010004 0001E504
	v_add_f32_e64 v5, v5, 1.0                                  // 000000009B94: D1010005 0001E505
	v_add_f32_e64 v6, v6, 1.0                                  // 000000009B9C: D1010006 0001E506
	v_add_f32_e64 v7, v7, 1.0                                  // 000000009BA4: D1010007 0001E507
	v_rcp_f32_e32 v4, v4                                       // 000000009BAC: 7E084504
	v_rcp_f32_e32 v5, v5                                       // 000000009BB0: 7E0A4505
	v_rcp_f32_e32 v6, v6                                       // 000000009BB4: 7E0C4506
	v_rcp_f32_e32 v7, v7                                       // 000000009BB8: 7E0E4507
	v_mul_f32_e32 v84, v84, v4                                 // 000000009BBC: 0AA80954
	v_mul_f32_e32 v85, v85, v5                                 // 000000009BC0: 0AAA0B55
	v_mul_f32_e32 v86, v86, v6                                 // 000000009BC4: 0AAC0D56
	v_mul_f32_e32 v87, v87, v7                                 // 000000009BC8: 0AAE0F57
	v_mul_f32_e32 v84, v84, v148                               // 000000009BCC: 0AA92954
	v_mul_f32_e32 v85, v85, v149                               // 000000009BD0: 0AAB2B55
	v_mul_f32_e32 v86, v86, v150                               // 000000009BD4: 0AAD2D56
	v_mul_f32_e32 v87, v87, v151                               // 000000009BD8: 0AAF2F57
	v_mul_f32_e64 v4, -v88, s6                                 // 000000009BDC: D1050004 20000D58
	v_mul_f32_e64 v5, -v89, s6                                 // 000000009BE4: D1050005 20000D59
	v_mul_f32_e64 v6, -v90, s6                                 // 000000009BEC: D1050006 20000D5A
	v_mul_f32_e64 v7, -v91, s6                                 // 000000009BF4: D1050007 20000D5B
	v_exp_f32_e32 v4, v4                                       // 000000009BFC: 7E084104
	v_exp_f32_e32 v5, v5                                       // 000000009C00: 7E0A4105
	v_exp_f32_e32 v6, v6                                       // 000000009C04: 7E0C4106
	v_exp_f32_e32 v7, v7                                       // 000000009C08: 7E0E4107
	v_add_f32_e64 v4, v4, 1.0                                  // 000000009C0C: D1010004 0001E504
	v_add_f32_e64 v5, v5, 1.0                                  // 000000009C14: D1010005 0001E505
	v_add_f32_e64 v6, v6, 1.0                                  // 000000009C1C: D1010006 0001E506
	v_add_f32_e64 v7, v7, 1.0                                  // 000000009C24: D1010007 0001E507
	v_rcp_f32_e32 v4, v4                                       // 000000009C2C: 7E084504
	v_rcp_f32_e32 v5, v5                                       // 000000009C30: 7E0A4505
	v_rcp_f32_e32 v6, v6                                       // 000000009C34: 7E0C4506
	v_rcp_f32_e32 v7, v7                                       // 000000009C38: 7E0E4507
	v_mul_f32_e32 v88, v88, v4                                 // 000000009C3C: 0AB00958
	v_mul_f32_e32 v89, v89, v5                                 // 000000009C40: 0AB20B59
	v_mul_f32_e32 v90, v90, v6                                 // 000000009C44: 0AB40D5A
	v_mul_f32_e32 v91, v91, v7                                 // 000000009C48: 0AB60F5B
	v_mul_f32_e32 v88, v88, v152                               // 000000009C4C: 0AB13158
	v_mul_f32_e32 v89, v89, v153                               // 000000009C50: 0AB33359
	v_mul_f32_e32 v90, v90, v154                               // 000000009C54: 0AB5355A
	v_mul_f32_e32 v91, v91, v155                               // 000000009C58: 0AB7375B
	v_mul_f32_e64 v4, -v92, s6                                 // 000000009C5C: D1050004 20000D5C
	v_mul_f32_e64 v5, -v93, s6                                 // 000000009C64: D1050005 20000D5D
	v_mul_f32_e64 v6, -v94, s6                                 // 000000009C6C: D1050006 20000D5E
	v_mul_f32_e64 v7, -v95, s6                                 // 000000009C74: D1050007 20000D5F
	v_exp_f32_e32 v4, v4                                       // 000000009C7C: 7E084104
	v_exp_f32_e32 v5, v5                                       // 000000009C80: 7E0A4105
	v_exp_f32_e32 v6, v6                                       // 000000009C84: 7E0C4106
	v_exp_f32_e32 v7, v7                                       // 000000009C88: 7E0E4107
	v_add_f32_e64 v4, v4, 1.0                                  // 000000009C8C: D1010004 0001E504
	v_add_f32_e64 v5, v5, 1.0                                  // 000000009C94: D1010005 0001E505
	v_add_f32_e64 v6, v6, 1.0                                  // 000000009C9C: D1010006 0001E506
	v_add_f32_e64 v7, v7, 1.0                                  // 000000009CA4: D1010007 0001E507
	v_rcp_f32_e32 v4, v4                                       // 000000009CAC: 7E084504
	v_rcp_f32_e32 v5, v5                                       // 000000009CB0: 7E0A4505
	v_rcp_f32_e32 v6, v6                                       // 000000009CB4: 7E0C4506
	v_rcp_f32_e32 v7, v7                                       // 000000009CB8: 7E0E4507
	v_mul_f32_e32 v92, v92, v4                                 // 000000009CBC: 0AB8095C
	v_mul_f32_e32 v93, v93, v5                                 // 000000009CC0: 0ABA0B5D
	v_mul_f32_e32 v94, v94, v6                                 // 000000009CC4: 0ABC0D5E
	v_mul_f32_e32 v95, v95, v7                                 // 000000009CC8: 0ABE0F5F
	v_mul_f32_e32 v92, v92, v156                               // 000000009CCC: 0AB9395C
	v_mul_f32_e32 v93, v93, v157                               // 000000009CD0: 0ABB3B5D
	v_mul_f32_e32 v94, v94, v158                               // 000000009CD4: 0ABD3D5E
	v_mul_f32_e32 v95, v95, v159                               // 000000009CD8: 0ABF3F5F
	v_mul_f32_e64 v4, -v96, s6                                 // 000000009CDC: D1050004 20000D60
	v_mul_f32_e64 v5, -v97, s6                                 // 000000009CE4: D1050005 20000D61
	v_mul_f32_e64 v6, -v98, s6                                 // 000000009CEC: D1050006 20000D62
	v_mul_f32_e64 v7, -v99, s6                                 // 000000009CF4: D1050007 20000D63
	v_exp_f32_e32 v4, v4                                       // 000000009CFC: 7E084104
	v_exp_f32_e32 v5, v5                                       // 000000009D00: 7E0A4105
	v_exp_f32_e32 v6, v6                                       // 000000009D04: 7E0C4106
	v_exp_f32_e32 v7, v7                                       // 000000009D08: 7E0E4107
	v_add_f32_e64 v4, v4, 1.0                                  // 000000009D0C: D1010004 0001E504
	v_add_f32_e64 v5, v5, 1.0                                  // 000000009D14: D1010005 0001E505
	v_add_f32_e64 v6, v6, 1.0                                  // 000000009D1C: D1010006 0001E506
	v_add_f32_e64 v7, v7, 1.0                                  // 000000009D24: D1010007 0001E507
	v_rcp_f32_e32 v4, v4                                       // 000000009D2C: 7E084504
	v_rcp_f32_e32 v5, v5                                       // 000000009D30: 7E0A4505
	v_rcp_f32_e32 v6, v6                                       // 000000009D34: 7E0C4506
	v_rcp_f32_e32 v7, v7                                       // 000000009D38: 7E0E4507
	v_mul_f32_e32 v96, v96, v4                                 // 000000009D3C: 0AC00960
	v_mul_f32_e32 v97, v97, v5                                 // 000000009D40: 0AC20B61
	v_mul_f32_e32 v98, v98, v6                                 // 000000009D44: 0AC40D62
	v_mul_f32_e32 v99, v99, v7                                 // 000000009D48: 0AC60F63
	v_mul_f32_e32 v96, v96, v160                               // 000000009D4C: 0AC14160
	v_mul_f32_e32 v97, v97, v161                               // 000000009D50: 0AC34361
	v_mul_f32_e32 v98, v98, v162                               // 000000009D54: 0AC54562
	v_mul_f32_e32 v99, v99, v163                               // 000000009D58: 0AC74763
	v_mul_f32_e64 v4, -v100, s6                                // 000000009D5C: D1050004 20000D64
	v_mul_f32_e64 v5, -v101, s6                                // 000000009D64: D1050005 20000D65
	v_mul_f32_e64 v6, -v102, s6                                // 000000009D6C: D1050006 20000D66
	v_mul_f32_e64 v7, -v103, s6                                // 000000009D74: D1050007 20000D67
	v_exp_f32_e32 v4, v4                                       // 000000009D7C: 7E084104
	v_exp_f32_e32 v5, v5                                       // 000000009D80: 7E0A4105
	v_exp_f32_e32 v6, v6                                       // 000000009D84: 7E0C4106
	v_exp_f32_e32 v7, v7                                       // 000000009D88: 7E0E4107
	v_add_f32_e64 v4, v4, 1.0                                  // 000000009D8C: D1010004 0001E504
	v_add_f32_e64 v5, v5, 1.0                                  // 000000009D94: D1010005 0001E505
	v_add_f32_e64 v6, v6, 1.0                                  // 000000009D9C: D1010006 0001E506
	v_add_f32_e64 v7, v7, 1.0                                  // 000000009DA4: D1010007 0001E507
	v_rcp_f32_e32 v4, v4                                       // 000000009DAC: 7E084504
	v_rcp_f32_e32 v5, v5                                       // 000000009DB0: 7E0A4505
	v_rcp_f32_e32 v6, v6                                       // 000000009DB4: 7E0C4506
	v_rcp_f32_e32 v7, v7                                       // 000000009DB8: 7E0E4507
	v_mul_f32_e32 v100, v100, v4                               // 000000009DBC: 0AC80964
	v_mul_f32_e32 v101, v101, v5                               // 000000009DC0: 0ACA0B65
	v_mul_f32_e32 v102, v102, v6                               // 000000009DC4: 0ACC0D66
	v_mul_f32_e32 v103, v103, v7                               // 000000009DC8: 0ACE0F67
	v_mul_f32_e32 v100, v100, v164                             // 000000009DCC: 0AC94964
	v_mul_f32_e32 v101, v101, v165                             // 000000009DD0: 0ACB4B65
	v_mul_f32_e32 v102, v102, v166                             // 000000009DD4: 0ACD4D66
	v_mul_f32_e32 v103, v103, v167                             // 000000009DD8: 0ACF4F67
	v_mul_f32_e64 v4, -v104, s6                                // 000000009DDC: D1050004 20000D68
	v_mul_f32_e64 v5, -v105, s6                                // 000000009DE4: D1050005 20000D69
	v_mul_f32_e64 v6, -v106, s6                                // 000000009DEC: D1050006 20000D6A
	v_mul_f32_e64 v7, -v107, s6                                // 000000009DF4: D1050007 20000D6B
	v_exp_f32_e32 v4, v4                                       // 000000009DFC: 7E084104
	v_exp_f32_e32 v5, v5                                       // 000000009E00: 7E0A4105
	v_exp_f32_e32 v6, v6                                       // 000000009E04: 7E0C4106
	v_exp_f32_e32 v7, v7                                       // 000000009E08: 7E0E4107
	v_add_f32_e64 v4, v4, 1.0                                  // 000000009E0C: D1010004 0001E504
	v_add_f32_e64 v5, v5, 1.0                                  // 000000009E14: D1010005 0001E505
	v_add_f32_e64 v6, v6, 1.0                                  // 000000009E1C: D1010006 0001E506
	v_add_f32_e64 v7, v7, 1.0                                  // 000000009E24: D1010007 0001E507
	v_rcp_f32_e32 v4, v4                                       // 000000009E2C: 7E084504
	v_rcp_f32_e32 v5, v5                                       // 000000009E30: 7E0A4505
	v_rcp_f32_e32 v6, v6                                       // 000000009E34: 7E0C4506
	v_rcp_f32_e32 v7, v7                                       // 000000009E38: 7E0E4507
	v_mul_f32_e32 v104, v104, v4                               // 000000009E3C: 0AD00968
	v_mul_f32_e32 v105, v105, v5                               // 000000009E40: 0AD20B69
	v_mul_f32_e32 v106, v106, v6                               // 000000009E44: 0AD40D6A
	v_mul_f32_e32 v107, v107, v7                               // 000000009E48: 0AD60F6B
	v_mul_f32_e32 v104, v104, v168                             // 000000009E4C: 0AD15168
	v_mul_f32_e32 v105, v105, v169                             // 000000009E50: 0AD35369
	v_mul_f32_e32 v106, v106, v170                             // 000000009E54: 0AD5556A
	v_mul_f32_e32 v107, v107, v171                             // 000000009E58: 0AD7576B
	v_mul_f32_e64 v4, -v108, s6                                // 000000009E5C: D1050004 20000D6C
	v_mul_f32_e64 v5, -v109, s6                                // 000000009E64: D1050005 20000D6D
	v_mul_f32_e64 v6, -v110, s6                                // 000000009E6C: D1050006 20000D6E
	v_mul_f32_e64 v7, -v111, s6                                // 000000009E74: D1050007 20000D6F
	v_exp_f32_e32 v4, v4                                       // 000000009E7C: 7E084104
	v_exp_f32_e32 v5, v5                                       // 000000009E80: 7E0A4105
	v_exp_f32_e32 v6, v6                                       // 000000009E84: 7E0C4106
	v_exp_f32_e32 v7, v7                                       // 000000009E88: 7E0E4107
	v_add_f32_e64 v4, v4, 1.0                                  // 000000009E8C: D1010004 0001E504
	v_add_f32_e64 v5, v5, 1.0                                  // 000000009E94: D1010005 0001E505
	v_add_f32_e64 v6, v6, 1.0                                  // 000000009E9C: D1010006 0001E506
	v_add_f32_e64 v7, v7, 1.0                                  // 000000009EA4: D1010007 0001E507
	v_rcp_f32_e32 v4, v4                                       // 000000009EAC: 7E084504
	v_rcp_f32_e32 v5, v5                                       // 000000009EB0: 7E0A4505
	v_rcp_f32_e32 v6, v6                                       // 000000009EB4: 7E0C4506
	v_rcp_f32_e32 v7, v7                                       // 000000009EB8: 7E0E4507
	v_mul_f32_e32 v108, v108, v4                               // 000000009EBC: 0AD8096C
	v_mul_f32_e32 v109, v109, v5                               // 000000009EC0: 0ADA0B6D
	v_mul_f32_e32 v110, v110, v6                               // 000000009EC4: 0ADC0D6E
	v_mul_f32_e32 v111, v111, v7                               // 000000009EC8: 0ADE0F6F
	v_mul_f32_e32 v108, v108, v172                             // 000000009ECC: 0AD9596C
	v_mul_f32_e32 v109, v109, v173                             // 000000009ED0: 0ADB5B6D
	v_mul_f32_e32 v110, v110, v174                             // 000000009ED4: 0ADD5D6E
	v_mul_f32_e32 v111, v111, v175                             // 000000009ED8: 0ADF5F6F
	v_mul_f32_e64 v4, -v112, s6                                // 000000009EDC: D1050004 20000D70
	v_mul_f32_e64 v5, -v113, s6                                // 000000009EE4: D1050005 20000D71
	v_mul_f32_e64 v6, -v114, s6                                // 000000009EEC: D1050006 20000D72
	v_mul_f32_e64 v7, -v115, s6                                // 000000009EF4: D1050007 20000D73
	v_exp_f32_e32 v4, v4                                       // 000000009EFC: 7E084104
	v_exp_f32_e32 v5, v5                                       // 000000009F00: 7E0A4105
	v_exp_f32_e32 v6, v6                                       // 000000009F04: 7E0C4106
	v_exp_f32_e32 v7, v7                                       // 000000009F08: 7E0E4107
	v_add_f32_e64 v4, v4, 1.0                                  // 000000009F0C: D1010004 0001E504
	v_add_f32_e64 v5, v5, 1.0                                  // 000000009F14: D1010005 0001E505
	v_add_f32_e64 v6, v6, 1.0                                  // 000000009F1C: D1010006 0001E506
	v_add_f32_e64 v7, v7, 1.0                                  // 000000009F24: D1010007 0001E507
	v_rcp_f32_e32 v4, v4                                       // 000000009F2C: 7E084504
	v_rcp_f32_e32 v5, v5                                       // 000000009F30: 7E0A4505
	v_rcp_f32_e32 v6, v6                                       // 000000009F34: 7E0C4506
	v_rcp_f32_e32 v7, v7                                       // 000000009F38: 7E0E4507
	v_mul_f32_e32 v112, v112, v4                               // 000000009F3C: 0AE00970
	v_mul_f32_e32 v113, v113, v5                               // 000000009F40: 0AE20B71
	v_mul_f32_e32 v114, v114, v6                               // 000000009F44: 0AE40D72
	v_mul_f32_e32 v115, v115, v7                               // 000000009F48: 0AE60F73
	v_mul_f32_e32 v112, v112, v176                             // 000000009F4C: 0AE16170
	v_mul_f32_e32 v113, v113, v177                             // 000000009F50: 0AE36371
	v_mul_f32_e32 v114, v114, v178                             // 000000009F54: 0AE56572
	v_mul_f32_e32 v115, v115, v179                             // 000000009F58: 0AE76773
	v_mul_f32_e64 v4, -v116, s6                                // 000000009F5C: D1050004 20000D74
	v_mul_f32_e64 v5, -v117, s6                                // 000000009F64: D1050005 20000D75
	v_mul_f32_e64 v6, -v118, s6                                // 000000009F6C: D1050006 20000D76
	v_mul_f32_e64 v7, -v119, s6                                // 000000009F74: D1050007 20000D77
	v_exp_f32_e32 v4, v4                                       // 000000009F7C: 7E084104
	v_exp_f32_e32 v5, v5                                       // 000000009F80: 7E0A4105
	v_exp_f32_e32 v6, v6                                       // 000000009F84: 7E0C4106
	v_exp_f32_e32 v7, v7                                       // 000000009F88: 7E0E4107
	v_add_f32_e64 v4, v4, 1.0                                  // 000000009F8C: D1010004 0001E504
	v_add_f32_e64 v5, v5, 1.0                                  // 000000009F94: D1010005 0001E505
	v_add_f32_e64 v6, v6, 1.0                                  // 000000009F9C: D1010006 0001E506
	v_add_f32_e64 v7, v7, 1.0                                  // 000000009FA4: D1010007 0001E507
	v_rcp_f32_e32 v4, v4                                       // 000000009FAC: 7E084504
	v_rcp_f32_e32 v5, v5                                       // 000000009FB0: 7E0A4505
	v_rcp_f32_e32 v6, v6                                       // 000000009FB4: 7E0C4506
	v_rcp_f32_e32 v7, v7                                       // 000000009FB8: 7E0E4507
	v_mul_f32_e32 v116, v116, v4                               // 000000009FBC: 0AE80974
	v_mul_f32_e32 v117, v117, v5                               // 000000009FC0: 0AEA0B75
	v_mul_f32_e32 v118, v118, v6                               // 000000009FC4: 0AEC0D76
	v_mul_f32_e32 v119, v119, v7                               // 000000009FC8: 0AEE0F77
	v_mul_f32_e32 v116, v116, v180                             // 000000009FCC: 0AE96974
	v_mul_f32_e32 v117, v117, v181                             // 000000009FD0: 0AEB6B75
	v_mul_f32_e32 v118, v118, v182                             // 000000009FD4: 0AED6D76
	v_mul_f32_e32 v119, v119, v183                             // 000000009FD8: 0AEF6F77

0000000000009fdc <label_1D7A>:
	v_cmp_u_f32_e64 s[46:47], v56, v56                         // 000000009FDC: D048002E 00027138
	v_add3_u32 v16, v56, v19, 1                                // 000000009FE4: D1FF0010 02062738
	v_cndmask_b32_e64 v4, v16, v18, s[46:47]                   // 000000009FEC: D1000004 00BA2510
	v_cmp_u_f32_e64 s[46:47], v57, v57                         // 000000009FF4: D048002E 00027339
	v_add3_u32 v16, v57, v19, 1                                // 000000009FFC: D1FF0010 02062739
	v_cndmask_b32_e64 v5, v16, v18, s[46:47]                   // 00000000A004: D1000005 00BA2510
	v_perm_b32 v56, v5, v4, s52                                // 00000000A00C: D1ED0038 00D20905
	v_cmp_u_f32_e64 s[46:47], v58, v58                         // 00000000A014: D048002E 0002753A
	v_add3_u32 v16, v58, v19, 1                                // 00000000A01C: D1FF0010 0206273A
	v_cndmask_b32_e64 v4, v16, v18, s[46:47]                   // 00000000A024: D1000004 00BA2510
	v_cmp_u_f32_e64 s[46:47], v59, v59                         // 00000000A02C: D048002E 0002773B
	v_add3_u32 v16, v59, v19, 1                                // 00000000A034: D1FF0010 0206273B
	v_cndmask_b32_e64 v5, v16, v18, s[46:47]                   // 00000000A03C: D1000005 00BA2510
	v_perm_b32 v57, v5, v4, s52                                // 00000000A044: D1ED0039 00D20905
	v_cmp_u_f32_e64 s[46:47], v60, v60                         // 00000000A04C: D048002E 0002793C
	v_add3_u32 v16, v60, v19, 1                                // 00000000A054: D1FF0010 0206273C
	v_cndmask_b32_e64 v4, v16, v18, s[46:47]                   // 00000000A05C: D1000004 00BA2510
	v_cmp_u_f32_e64 s[46:47], v61, v61                         // 00000000A064: D048002E 00027B3D
	v_add3_u32 v16, v61, v19, 1                                // 00000000A06C: D1FF0010 0206273D
	v_cndmask_b32_e64 v5, v16, v18, s[46:47]                   // 00000000A074: D1000005 00BA2510
	v_perm_b32 v58, v5, v4, s52                                // 00000000A07C: D1ED003A 00D20905
	v_cmp_u_f32_e64 s[46:47], v62, v62                         // 00000000A084: D048002E 00027D3E
	v_add3_u32 v16, v62, v19, 1                                // 00000000A08C: D1FF0010 0206273E
	v_cndmask_b32_e64 v4, v16, v18, s[46:47]                   // 00000000A094: D1000004 00BA2510
	v_cmp_u_f32_e64 s[46:47], v63, v63                         // 00000000A09C: D048002E 00027F3F
	v_add3_u32 v16, v63, v19, 1                                // 00000000A0A4: D1FF0010 0206273F
	v_cndmask_b32_e64 v5, v16, v18, s[46:47]                   // 00000000A0AC: D1000005 00BA2510
	v_perm_b32 v59, v5, v4, s52                                // 00000000A0B4: D1ED003B 00D20905
	v_cmp_u_f32_e64 s[46:47], v64, v64                         // 00000000A0BC: D048002E 00028140
	v_add3_u32 v16, v64, v19, 1                                // 00000000A0C4: D1FF0010 02062740
	v_cndmask_b32_e64 v4, v16, v18, s[46:47]                   // 00000000A0CC: D1000004 00BA2510
	v_cmp_u_f32_e64 s[46:47], v65, v65                         // 00000000A0D4: D048002E 00028341
	v_add3_u32 v16, v65, v19, 1                                // 00000000A0DC: D1FF0010 02062741
	v_cndmask_b32_e64 v5, v16, v18, s[46:47]                   // 00000000A0E4: D1000005 00BA2510
	v_perm_b32 v60, v5, v4, s52                                // 00000000A0EC: D1ED003C 00D20905
	v_cmp_u_f32_e64 s[46:47], v66, v66                         // 00000000A0F4: D048002E 00028542
	v_add3_u32 v16, v66, v19, 1                                // 00000000A0FC: D1FF0010 02062742
	v_cndmask_b32_e64 v4, v16, v18, s[46:47]                   // 00000000A104: D1000004 00BA2510
	v_cmp_u_f32_e64 s[46:47], v67, v67                         // 00000000A10C: D048002E 00028743
	v_add3_u32 v16, v67, v19, 1                                // 00000000A114: D1FF0010 02062743
	v_cndmask_b32_e64 v5, v16, v18, s[46:47]                   // 00000000A11C: D1000005 00BA2510
	v_perm_b32 v61, v5, v4, s52                                // 00000000A124: D1ED003D 00D20905
	v_cmp_u_f32_e64 s[46:47], v68, v68                         // 00000000A12C: D048002E 00028944
	v_add3_u32 v16, v68, v19, 1                                // 00000000A134: D1FF0010 02062744
	v_cndmask_b32_e64 v4, v16, v18, s[46:47]                   // 00000000A13C: D1000004 00BA2510
	v_cmp_u_f32_e64 s[46:47], v69, v69                         // 00000000A144: D048002E 00028B45
	v_add3_u32 v16, v69, v19, 1                                // 00000000A14C: D1FF0010 02062745
	v_cndmask_b32_e64 v5, v16, v18, s[46:47]                   // 00000000A154: D1000005 00BA2510
	v_perm_b32 v62, v5, v4, s52                                // 00000000A15C: D1ED003E 00D20905
	v_cmp_u_f32_e64 s[46:47], v70, v70                         // 00000000A164: D048002E 00028D46
	v_add3_u32 v16, v70, v19, 1                                // 00000000A16C: D1FF0010 02062746
	v_cndmask_b32_e64 v4, v16, v18, s[46:47]                   // 00000000A174: D1000004 00BA2510
	v_cmp_u_f32_e64 s[46:47], v71, v71                         // 00000000A17C: D048002E 00028F47
	v_add3_u32 v16, v71, v19, 1                                // 00000000A184: D1FF0010 02062747
	v_cndmask_b32_e64 v5, v16, v18, s[46:47]                   // 00000000A18C: D1000005 00BA2510
	v_perm_b32 v63, v5, v4, s52                                // 00000000A194: D1ED003F 00D20905
	v_cmp_u_f32_e64 s[46:47], v72, v72                         // 00000000A19C: D048002E 00029148
	v_add3_u32 v16, v72, v19, 1                                // 00000000A1A4: D1FF0010 02062748
	v_cndmask_b32_e64 v4, v16, v18, s[46:47]                   // 00000000A1AC: D1000004 00BA2510
	v_cmp_u_f32_e64 s[46:47], v73, v73                         // 00000000A1B4: D048002E 00029349
	v_add3_u32 v16, v73, v19, 1                                // 00000000A1BC: D1FF0010 02062749
	v_cndmask_b32_e64 v5, v16, v18, s[46:47]                   // 00000000A1C4: D1000005 00BA2510
	v_perm_b32 v64, v5, v4, s52                                // 00000000A1CC: D1ED0040 00D20905
	v_cmp_u_f32_e64 s[46:47], v74, v74                         // 00000000A1D4: D048002E 0002954A
	v_add3_u32 v16, v74, v19, 1                                // 00000000A1DC: D1FF0010 0206274A
	v_cndmask_b32_e64 v4, v16, v18, s[46:47]                   // 00000000A1E4: D1000004 00BA2510
	v_cmp_u_f32_e64 s[46:47], v75, v75                         // 00000000A1EC: D048002E 0002974B
	v_add3_u32 v16, v75, v19, 1                                // 00000000A1F4: D1FF0010 0206274B
	v_cndmask_b32_e64 v5, v16, v18, s[46:47]                   // 00000000A1FC: D1000005 00BA2510
	v_perm_b32 v65, v5, v4, s52                                // 00000000A204: D1ED0041 00D20905
	v_cmp_u_f32_e64 s[46:47], v76, v76                         // 00000000A20C: D048002E 0002994C
	v_add3_u32 v16, v76, v19, 1                                // 00000000A214: D1FF0010 0206274C
	v_cndmask_b32_e64 v4, v16, v18, s[46:47]                   // 00000000A21C: D1000004 00BA2510
	v_cmp_u_f32_e64 s[46:47], v77, v77                         // 00000000A224: D048002E 00029B4D
	v_add3_u32 v16, v77, v19, 1                                // 00000000A22C: D1FF0010 0206274D
	v_cndmask_b32_e64 v5, v16, v18, s[46:47]                   // 00000000A234: D1000005 00BA2510
	v_perm_b32 v66, v5, v4, s52                                // 00000000A23C: D1ED0042 00D20905
	v_cmp_u_f32_e64 s[46:47], v78, v78                         // 00000000A244: D048002E 00029D4E
	v_add3_u32 v16, v78, v19, 1                                // 00000000A24C: D1FF0010 0206274E
	v_cndmask_b32_e64 v4, v16, v18, s[46:47]                   // 00000000A254: D1000004 00BA2510
	v_cmp_u_f32_e64 s[46:47], v79, v79                         // 00000000A25C: D048002E 00029F4F
	v_add3_u32 v16, v79, v19, 1                                // 00000000A264: D1FF0010 0206274F
	v_cndmask_b32_e64 v5, v16, v18, s[46:47]                   // 00000000A26C: D1000005 00BA2510
	v_perm_b32 v67, v5, v4, s52                                // 00000000A274: D1ED0043 00D20905
	v_cmp_u_f32_e64 s[46:47], v80, v80                         // 00000000A27C: D048002E 0002A150
	v_add3_u32 v16, v80, v19, 1                                // 00000000A284: D1FF0010 02062750
	v_cndmask_b32_e64 v4, v16, v18, s[46:47]                   // 00000000A28C: D1000004 00BA2510
	v_cmp_u_f32_e64 s[46:47], v81, v81                         // 00000000A294: D048002E 0002A351
	v_add3_u32 v16, v81, v19, 1                                // 00000000A29C: D1FF0010 02062751
	v_cndmask_b32_e64 v5, v16, v18, s[46:47]                   // 00000000A2A4: D1000005 00BA2510
	v_perm_b32 v68, v5, v4, s52                                // 00000000A2AC: D1ED0044 00D20905
	v_cmp_u_f32_e64 s[46:47], v82, v82                         // 00000000A2B4: D048002E 0002A552
	v_add3_u32 v16, v82, v19, 1                                // 00000000A2BC: D1FF0010 02062752
	v_cndmask_b32_e64 v4, v16, v18, s[46:47]                   // 00000000A2C4: D1000004 00BA2510
	v_cmp_u_f32_e64 s[46:47], v83, v83                         // 00000000A2CC: D048002E 0002A753
	v_add3_u32 v16, v83, v19, 1                                // 00000000A2D4: D1FF0010 02062753
	v_cndmask_b32_e64 v5, v16, v18, s[46:47]                   // 00000000A2DC: D1000005 00BA2510
	v_perm_b32 v69, v5, v4, s52                                // 00000000A2E4: D1ED0045 00D20905
	v_cmp_u_f32_e64 s[46:47], v84, v84                         // 00000000A2EC: D048002E 0002A954
	v_add3_u32 v16, v84, v19, 1                                // 00000000A2F4: D1FF0010 02062754
	v_cndmask_b32_e64 v4, v16, v18, s[46:47]                   // 00000000A2FC: D1000004 00BA2510
	v_cmp_u_f32_e64 s[46:47], v85, v85                         // 00000000A304: D048002E 0002AB55
	v_add3_u32 v16, v85, v19, 1                                // 00000000A30C: D1FF0010 02062755
	v_cndmask_b32_e64 v5, v16, v18, s[46:47]                   // 00000000A314: D1000005 00BA2510
	v_perm_b32 v70, v5, v4, s52                                // 00000000A31C: D1ED0046 00D20905
	v_cmp_u_f32_e64 s[46:47], v86, v86                         // 00000000A324: D048002E 0002AD56
	v_add3_u32 v16, v86, v19, 1                                // 00000000A32C: D1FF0010 02062756
	v_cndmask_b32_e64 v4, v16, v18, s[46:47]                   // 00000000A334: D1000004 00BA2510
	v_cmp_u_f32_e64 s[46:47], v87, v87                         // 00000000A33C: D048002E 0002AF57
	v_add3_u32 v16, v87, v19, 1                                // 00000000A344: D1FF0010 02062757
	v_cndmask_b32_e64 v5, v16, v18, s[46:47]                   // 00000000A34C: D1000005 00BA2510
	v_perm_b32 v71, v5, v4, s52                                // 00000000A354: D1ED0047 00D20905
	v_cmp_u_f32_e64 s[46:47], v88, v88                         // 00000000A35C: D048002E 0002B158
	v_add3_u32 v16, v88, v19, 1                                // 00000000A364: D1FF0010 02062758
	v_cndmask_b32_e64 v4, v16, v18, s[46:47]                   // 00000000A36C: D1000004 00BA2510
	v_cmp_u_f32_e64 s[46:47], v89, v89                         // 00000000A374: D048002E 0002B359
	v_add3_u32 v16, v89, v19, 1                                // 00000000A37C: D1FF0010 02062759
	v_cndmask_b32_e64 v5, v16, v18, s[46:47]                   // 00000000A384: D1000005 00BA2510
	v_perm_b32 v72, v5, v4, s52                                // 00000000A38C: D1ED0048 00D20905
	v_cmp_u_f32_e64 s[46:47], v90, v90                         // 00000000A394: D048002E 0002B55A
	v_add3_u32 v16, v90, v19, 1                                // 00000000A39C: D1FF0010 0206275A
	v_cndmask_b32_e64 v4, v16, v18, s[46:47]                   // 00000000A3A4: D1000004 00BA2510
	v_cmp_u_f32_e64 s[46:47], v91, v91                         // 00000000A3AC: D048002E 0002B75B
	v_add3_u32 v16, v91, v19, 1                                // 00000000A3B4: D1FF0010 0206275B
	v_cndmask_b32_e64 v5, v16, v18, s[46:47]                   // 00000000A3BC: D1000005 00BA2510
	v_perm_b32 v73, v5, v4, s52                                // 00000000A3C4: D1ED0049 00D20905
	v_cmp_u_f32_e64 s[46:47], v92, v92                         // 00000000A3CC: D048002E 0002B95C
	v_add3_u32 v16, v92, v19, 1                                // 00000000A3D4: D1FF0010 0206275C
	v_cndmask_b32_e64 v4, v16, v18, s[46:47]                   // 00000000A3DC: D1000004 00BA2510
	v_cmp_u_f32_e64 s[46:47], v93, v93                         // 00000000A3E4: D048002E 0002BB5D
	v_add3_u32 v16, v93, v19, 1                                // 00000000A3EC: D1FF0010 0206275D
	v_cndmask_b32_e64 v5, v16, v18, s[46:47]                   // 00000000A3F4: D1000005 00BA2510
	v_perm_b32 v74, v5, v4, s52                                // 00000000A3FC: D1ED004A 00D20905
	v_cmp_u_f32_e64 s[46:47], v94, v94                         // 00000000A404: D048002E 0002BD5E
	v_add3_u32 v16, v94, v19, 1                                // 00000000A40C: D1FF0010 0206275E
	v_cndmask_b32_e64 v4, v16, v18, s[46:47]                   // 00000000A414: D1000004 00BA2510
	v_cmp_u_f32_e64 s[46:47], v95, v95                         // 00000000A41C: D048002E 0002BF5F
	v_add3_u32 v16, v95, v19, 1                                // 00000000A424: D1FF0010 0206275F
	v_cndmask_b32_e64 v5, v16, v18, s[46:47]                   // 00000000A42C: D1000005 00BA2510
	v_perm_b32 v75, v5, v4, s52                                // 00000000A434: D1ED004B 00D20905
	v_cmp_u_f32_e64 s[46:47], v96, v96                         // 00000000A43C: D048002E 0002C160
	v_add3_u32 v16, v96, v19, 1                                // 00000000A444: D1FF0010 02062760
	v_cndmask_b32_e64 v4, v16, v18, s[46:47]                   // 00000000A44C: D1000004 00BA2510
	v_cmp_u_f32_e64 s[46:47], v97, v97                         // 00000000A454: D048002E 0002C361
	v_add3_u32 v16, v97, v19, 1                                // 00000000A45C: D1FF0010 02062761
	v_cndmask_b32_e64 v5, v16, v18, s[46:47]                   // 00000000A464: D1000005 00BA2510
	v_perm_b32 v76, v5, v4, s52                                // 00000000A46C: D1ED004C 00D20905
	v_cmp_u_f32_e64 s[46:47], v98, v98                         // 00000000A474: D048002E 0002C562
	v_add3_u32 v16, v98, v19, 1                                // 00000000A47C: D1FF0010 02062762
	v_cndmask_b32_e64 v4, v16, v18, s[46:47]                   // 00000000A484: D1000004 00BA2510
	v_cmp_u_f32_e64 s[46:47], v99, v99                         // 00000000A48C: D048002E 0002C763
	v_add3_u32 v16, v99, v19, 1                                // 00000000A494: D1FF0010 02062763
	v_cndmask_b32_e64 v5, v16, v18, s[46:47]                   // 00000000A49C: D1000005 00BA2510
	v_perm_b32 v77, v5, v4, s52                                // 00000000A4A4: D1ED004D 00D20905
	v_cmp_u_f32_e64 s[46:47], v100, v100                       // 00000000A4AC: D048002E 0002C964
	v_add3_u32 v16, v100, v19, 1                               // 00000000A4B4: D1FF0010 02062764
	v_cndmask_b32_e64 v4, v16, v18, s[46:47]                   // 00000000A4BC: D1000004 00BA2510
	v_cmp_u_f32_e64 s[46:47], v101, v101                       // 00000000A4C4: D048002E 0002CB65
	v_add3_u32 v16, v101, v19, 1                               // 00000000A4CC: D1FF0010 02062765
	v_cndmask_b32_e64 v5, v16, v18, s[46:47]                   // 00000000A4D4: D1000005 00BA2510
	v_perm_b32 v78, v5, v4, s52                                // 00000000A4DC: D1ED004E 00D20905
	v_cmp_u_f32_e64 s[46:47], v102, v102                       // 00000000A4E4: D048002E 0002CD66
	v_add3_u32 v16, v102, v19, 1                               // 00000000A4EC: D1FF0010 02062766
	v_cndmask_b32_e64 v4, v16, v18, s[46:47]                   // 00000000A4F4: D1000004 00BA2510
	v_cmp_u_f32_e64 s[46:47], v103, v103                       // 00000000A4FC: D048002E 0002CF67
	v_add3_u32 v16, v103, v19, 1                               // 00000000A504: D1FF0010 02062767
	v_cndmask_b32_e64 v5, v16, v18, s[46:47]                   // 00000000A50C: D1000005 00BA2510
	v_perm_b32 v79, v5, v4, s52                                // 00000000A514: D1ED004F 00D20905
	v_cmp_u_f32_e64 s[46:47], v104, v104                       // 00000000A51C: D048002E 0002D168
	v_add3_u32 v16, v104, v19, 1                               // 00000000A524: D1FF0010 02062768
	v_cndmask_b32_e64 v4, v16, v18, s[46:47]                   // 00000000A52C: D1000004 00BA2510
	v_cmp_u_f32_e64 s[46:47], v105, v105                       // 00000000A534: D048002E 0002D369
	v_add3_u32 v16, v105, v19, 1                               // 00000000A53C: D1FF0010 02062769
	v_cndmask_b32_e64 v5, v16, v18, s[46:47]                   // 00000000A544: D1000005 00BA2510
	v_perm_b32 v80, v5, v4, s52                                // 00000000A54C: D1ED0050 00D20905
	v_cmp_u_f32_e64 s[46:47], v106, v106                       // 00000000A554: D048002E 0002D56A
	v_add3_u32 v16, v106, v19, 1                               // 00000000A55C: D1FF0010 0206276A
	v_cndmask_b32_e64 v4, v16, v18, s[46:47]                   // 00000000A564: D1000004 00BA2510
	v_cmp_u_f32_e64 s[46:47], v107, v107                       // 00000000A56C: D048002E 0002D76B
	v_add3_u32 v16, v107, v19, 1                               // 00000000A574: D1FF0010 0206276B
	v_cndmask_b32_e64 v5, v16, v18, s[46:47]                   // 00000000A57C: D1000005 00BA2510
	v_perm_b32 v81, v5, v4, s52                                // 00000000A584: D1ED0051 00D20905
	v_cmp_u_f32_e64 s[46:47], v108, v108                       // 00000000A58C: D048002E 0002D96C
	v_add3_u32 v16, v108, v19, 1                               // 00000000A594: D1FF0010 0206276C
	v_cndmask_b32_e64 v4, v16, v18, s[46:47]                   // 00000000A59C: D1000004 00BA2510
	v_cmp_u_f32_e64 s[46:47], v109, v109                       // 00000000A5A4: D048002E 0002DB6D
	v_add3_u32 v16, v109, v19, 1                               // 00000000A5AC: D1FF0010 0206276D
	v_cndmask_b32_e64 v5, v16, v18, s[46:47]                   // 00000000A5B4: D1000005 00BA2510
	v_perm_b32 v82, v5, v4, s52                                // 00000000A5BC: D1ED0052 00D20905
	v_cmp_u_f32_e64 s[46:47], v110, v110                       // 00000000A5C4: D048002E 0002DD6E
	v_add3_u32 v16, v110, v19, 1                               // 00000000A5CC: D1FF0010 0206276E
	v_cndmask_b32_e64 v4, v16, v18, s[46:47]                   // 00000000A5D4: D1000004 00BA2510
	v_cmp_u_f32_e64 s[46:47], v111, v111                       // 00000000A5DC: D048002E 0002DF6F
	v_add3_u32 v16, v111, v19, 1                               // 00000000A5E4: D1FF0010 0206276F
	v_cndmask_b32_e64 v5, v16, v18, s[46:47]                   // 00000000A5EC: D1000005 00BA2510
	v_perm_b32 v83, v5, v4, s52                                // 00000000A5F4: D1ED0053 00D20905
	v_cmp_u_f32_e64 s[46:47], v112, v112                       // 00000000A5FC: D048002E 0002E170
	v_add3_u32 v16, v112, v19, 1                               // 00000000A604: D1FF0010 02062770
	v_cndmask_b32_e64 v4, v16, v18, s[46:47]                   // 00000000A60C: D1000004 00BA2510
	v_cmp_u_f32_e64 s[46:47], v113, v113                       // 00000000A614: D048002E 0002E371
	v_add3_u32 v16, v113, v19, 1                               // 00000000A61C: D1FF0010 02062771
	v_cndmask_b32_e64 v5, v16, v18, s[46:47]                   // 00000000A624: D1000005 00BA2510
	v_perm_b32 v84, v5, v4, s52                                // 00000000A62C: D1ED0054 00D20905
	v_cmp_u_f32_e64 s[46:47], v114, v114                       // 00000000A634: D048002E 0002E572
	v_add3_u32 v16, v114, v19, 1                               // 00000000A63C: D1FF0010 02062772
	v_cndmask_b32_e64 v4, v16, v18, s[46:47]                   // 00000000A644: D1000004 00BA2510
	v_cmp_u_f32_e64 s[46:47], v115, v115                       // 00000000A64C: D048002E 0002E773
	v_add3_u32 v16, v115, v19, 1                               // 00000000A654: D1FF0010 02062773
	v_cndmask_b32_e64 v5, v16, v18, s[46:47]                   // 00000000A65C: D1000005 00BA2510
	v_perm_b32 v85, v5, v4, s52                                // 00000000A664: D1ED0055 00D20905
	v_cmp_u_f32_e64 s[46:47], v116, v116                       // 00000000A66C: D048002E 0002E974
	v_add3_u32 v16, v116, v19, 1                               // 00000000A674: D1FF0010 02062774
	v_cndmask_b32_e64 v4, v16, v18, s[46:47]                   // 00000000A67C: D1000004 00BA2510
	v_cmp_u_f32_e64 s[46:47], v117, v117                       // 00000000A684: D048002E 0002EB75
	v_add3_u32 v16, v117, v19, 1                               // 00000000A68C: D1FF0010 02062775
	v_cndmask_b32_e64 v5, v16, v18, s[46:47]                   // 00000000A694: D1000005 00BA2510
	v_perm_b32 v86, v5, v4, s52                                // 00000000A69C: D1ED0056 00D20905
	v_cmp_u_f32_e64 s[46:47], v118, v118                       // 00000000A6A4: D048002E 0002ED76
	v_add3_u32 v16, v118, v19, 1                               // 00000000A6AC: D1FF0010 02062776
	v_cndmask_b32_e64 v4, v16, v18, s[46:47]                   // 00000000A6B4: D1000004 00BA2510
	v_cmp_u_f32_e64 s[46:47], v119, v119                       // 00000000A6BC: D048002E 0002EF77
	v_add3_u32 v16, v119, v19, 1                               // 00000000A6C4: D1FF0010 02062777
	v_cndmask_b32_e64 v5, v16, v18, s[46:47]                   // 00000000A6CC: D1000005 00BA2510
	v_perm_b32 v87, v5, v4, s52                                // 00000000A6D4: D1ED0057 00D20905
	ds_write_b64 v20, v[56:57]                                 // 00000000A6DC: D89A0000 00003814
	ds_write_b64 v20, v[58:59] offset:8704                     // 00000000A6E4: D89A2200 00003A14
	ds_write_b64 v20, v[60:61] offset:17408                    // 00000000A6EC: D89A4400 00003C14
	ds_write_b64 v20, v[62:63] offset:26112                    // 00000000A6F4: D89A6600 00003E14
	ds_write_b64 v20, v[64:65] offset:2176                     // 00000000A6FC: D89A0880 00004014
	ds_write_b64 v20, v[66:67] offset:10880                    // 00000000A704: D89A2A80 00004214
	ds_write_b64 v20, v[68:69] offset:19584                    // 00000000A70C: D89A4C80 00004414
	ds_write_b64 v20, v[70:71] offset:28288                    // 00000000A714: D89A6E80 00004614
	ds_write_b64 v20, v[72:73] offset:4352                     // 00000000A71C: D89A1100 00004814
	ds_write_b64 v20, v[74:75] offset:13056                    // 00000000A724: D89A3300 00004A14
	ds_write_b64 v20, v[76:77] offset:21760                    // 00000000A72C: D89A5500 00004C14
	ds_write_b64 v20, v[78:79] offset:30464                    // 00000000A734: D89A7700 00004E14
	ds_write_b64 v20, v[80:81] offset:6528                     // 00000000A73C: D89A1980 00005014
	ds_write_b64 v20, v[82:83] offset:15232                    // 00000000A744: D89A3B80 00005214
	ds_write_b64 v20, v[84:85] offset:23936                    // 00000000A74C: D89A5D80 00005414
	ds_write_b64 v20, v[86:87] offset:32640                    // 00000000A754: D89A7F80 00005614
	v_lshrrev_b32_e32 v4, 5, v0                                // 00000000A75C: 20080085
	v_xor_b32_e32 v5, 1, v4                                    // 00000000A760: 2A0A0881
	s_mul_i32 s60, s65, 2                                      // 00000000A764: 923C8241
	s_cmp_eq_u32 s88, 0                                        // 00000000A768: BF068058
	s_cselect_b32 s61, 1, 4                                    // 00000000A76C: 853D8481
	s_mul_i32 s60, s61, s60                                    // 00000000A770: 923C3C3D
	v_readlane_b32 s82, v3, 0                                  // 00000000A774: D2890052 00010103
	s_lshr_b32 s61, s82, 24                                    // 00000000A77C: 8F3D9852
	s_and_b32 s82, s82, 0xffffff                               // 00000000A780: 8652FF52 00FFFFFF
	s_mul_i32 s82, s82, s71                                    // 00000000A788: 92524752
	s_mul_i32 s61, s60, s61                                    // 00000000A78C: 923D3D3C
	s_add_u32 s82, s82, s61                                    // 00000000A790: 80523D52
	v_mul_lo_u32 v6, v5, s82                                   // 00000000A794: D2850006 0000A505
	v_readlane_b32 s82, v3, 1                                  // 00000000A79C: D2890052 00010303
	s_lshr_b32 s61, s82, 24                                    // 00000000A7A4: 8F3D9852
	s_and_b32 s82, s82, 0xffffff                               // 00000000A7A8: 8652FF52 00FFFFFF
	s_mul_i32 s82, s82, s71                                    // 00000000A7B0: 92524752
	s_mul_i32 s61, s60, s61                                    // 00000000A7B4: 923D3D3C
	s_add_u32 s82, s82, s61                                    // 00000000A7B8: 80523D52
	v_mul_lo_u32 v7, v4, s82                                   // 00000000A7BC: D2850007 0000A504
	v_add_u32_e32 v44, v6, v7                                  // 00000000A7C4: 68580F06
	v_readlane_b32 s82, v3, 2                                  // 00000000A7C8: D2890052 00010503
	s_lshr_b32 s61, s82, 24                                    // 00000000A7D0: 8F3D9852
	s_and_b32 s82, s82, 0xffffff                               // 00000000A7D4: 8652FF52 00FFFFFF
	s_mul_i32 s82, s82, s71                                    // 00000000A7DC: 92524752
	s_mul_i32 s61, s60, s61                                    // 00000000A7E0: 923D3D3C
	s_add_u32 s82, s82, s61                                    // 00000000A7E4: 80523D52
	v_mul_lo_u32 v6, v5, s82                                   // 00000000A7E8: D2850006 0000A505
	v_readlane_b32 s82, v3, 3                                  // 00000000A7F0: D2890052 00010703
	s_lshr_b32 s61, s82, 24                                    // 00000000A7F8: 8F3D9852
	s_and_b32 s82, s82, 0xffffff                               // 00000000A7FC: 8652FF52 00FFFFFF
	s_mul_i32 s82, s82, s71                                    // 00000000A804: 92524752
	s_mul_i32 s61, s60, s61                                    // 00000000A808: 923D3D3C
	s_add_u32 s82, s82, s61                                    // 00000000A80C: 80523D52
	v_mul_lo_u32 v7, v4, s82                                   // 00000000A810: D2850007 0000A504
	v_add_u32_e32 v45, v6, v7                                  // 00000000A818: 685A0F06
	v_readlane_b32 s82, v3, 4                                  // 00000000A81C: D2890052 00010903
	s_lshr_b32 s61, s82, 24                                    // 00000000A824: 8F3D9852
	s_and_b32 s82, s82, 0xffffff                               // 00000000A828: 8652FF52 00FFFFFF
	s_mul_i32 s82, s82, s71                                    // 00000000A830: 92524752
	s_mul_i32 s61, s60, s61                                    // 00000000A834: 923D3D3C
	s_add_u32 s82, s82, s61                                    // 00000000A838: 80523D52
	v_mul_lo_u32 v6, v5, s82                                   // 00000000A83C: D2850006 0000A505
	v_readlane_b32 s82, v3, 5                                  // 00000000A844: D2890052 00010B03
	s_lshr_b32 s61, s82, 24                                    // 00000000A84C: 8F3D9852
	s_and_b32 s82, s82, 0xffffff                               // 00000000A850: 8652FF52 00FFFFFF
	s_mul_i32 s82, s82, s71                                    // 00000000A858: 92524752
	s_mul_i32 s61, s60, s61                                    // 00000000A85C: 923D3D3C
	s_add_u32 s82, s82, s61                                    // 00000000A860: 80523D52
	v_mul_lo_u32 v7, v4, s82                                   // 00000000A864: D2850007 0000A504
	v_add_u32_e32 v46, v6, v7                                  // 00000000A86C: 685C0F06
	v_readlane_b32 s82, v3, 6                                  // 00000000A870: D2890052 00010D03
	s_lshr_b32 s61, s82, 24                                    // 00000000A878: 8F3D9852
	s_and_b32 s82, s82, 0xffffff                               // 00000000A87C: 8652FF52 00FFFFFF
	s_mul_i32 s82, s82, s71                                    // 00000000A884: 92524752
	s_mul_i32 s61, s60, s61                                    // 00000000A888: 923D3D3C
	s_add_u32 s82, s82, s61                                    // 00000000A88C: 80523D52
	v_mul_lo_u32 v6, v5, s82                                   // 00000000A890: D2850006 0000A505
	v_readlane_b32 s82, v3, 7                                  // 00000000A898: D2890052 00010F03
	s_lshr_b32 s61, s82, 24                                    // 00000000A8A0: 8F3D9852
	s_and_b32 s82, s82, 0xffffff                               // 00000000A8A4: 8652FF52 00FFFFFF
	s_mul_i32 s82, s82, s71                                    // 00000000A8AC: 92524752
	s_mul_i32 s61, s60, s61                                    // 00000000A8B0: 923D3D3C
	s_add_u32 s82, s82, s61                                    // 00000000A8B4: 80523D52
	v_mul_lo_u32 v7, v4, s82                                   // 00000000A8B8: D2850007 0000A504
	v_add_u32_e32 v47, v6, v7                                  // 00000000A8C0: 685E0F06
	v_readlane_b32 s82, v3, 8                                  // 00000000A8C4: D2890052 00011103
	s_lshr_b32 s61, s82, 24                                    // 00000000A8CC: 8F3D9852
	s_and_b32 s82, s82, 0xffffff                               // 00000000A8D0: 8652FF52 00FFFFFF
	s_mul_i32 s82, s82, s71                                    // 00000000A8D8: 92524752
	s_mul_i32 s61, s60, s61                                    // 00000000A8DC: 923D3D3C
	s_add_u32 s82, s82, s61                                    // 00000000A8E0: 80523D52
	v_mul_lo_u32 v6, v5, s82                                   // 00000000A8E4: D2850006 0000A505
	v_readlane_b32 s82, v3, 9                                  // 00000000A8EC: D2890052 00011303
	s_lshr_b32 s61, s82, 24                                    // 00000000A8F4: 8F3D9852
	s_and_b32 s82, s82, 0xffffff                               // 00000000A8F8: 8652FF52 00FFFFFF
	s_mul_i32 s82, s82, s71                                    // 00000000A900: 92524752
	s_mul_i32 s61, s60, s61                                    // 00000000A904: 923D3D3C
	s_add_u32 s82, s82, s61                                    // 00000000A908: 80523D52
	v_mul_lo_u32 v7, v4, s82                                   // 00000000A90C: D2850007 0000A504
	v_add_u32_e32 v48, v6, v7                                  // 00000000A914: 68600F06
	v_readlane_b32 s82, v3, 10                                 // 00000000A918: D2890052 00011503
	s_lshr_b32 s61, s82, 24                                    // 00000000A920: 8F3D9852
	s_and_b32 s82, s82, 0xffffff                               // 00000000A924: 8652FF52 00FFFFFF
	s_mul_i32 s82, s82, s71                                    // 00000000A92C: 92524752
	s_mul_i32 s61, s60, s61                                    // 00000000A930: 923D3D3C
	s_add_u32 s82, s82, s61                                    // 00000000A934: 80523D52
	v_mul_lo_u32 v6, v5, s82                                   // 00000000A938: D2850006 0000A505
	v_readlane_b32 s82, v3, 11                                 // 00000000A940: D2890052 00011703
	s_lshr_b32 s61, s82, 24                                    // 00000000A948: 8F3D9852
	s_and_b32 s82, s82, 0xffffff                               // 00000000A94C: 8652FF52 00FFFFFF
	s_mul_i32 s82, s82, s71                                    // 00000000A954: 92524752
	s_mul_i32 s61, s60, s61                                    // 00000000A958: 923D3D3C
	s_add_u32 s82, s82, s61                                    // 00000000A95C: 80523D52
	v_mul_lo_u32 v7, v4, s82                                   // 00000000A960: D2850007 0000A504
	v_add_u32_e32 v49, v6, v7                                  // 00000000A968: 68620F06
	v_readlane_b32 s82, v3, 12                                 // 00000000A96C: D2890052 00011903
	s_lshr_b32 s61, s82, 24                                    // 00000000A974: 8F3D9852
	s_and_b32 s82, s82, 0xffffff                               // 00000000A978: 8652FF52 00FFFFFF
	s_mul_i32 s82, s82, s71                                    // 00000000A980: 92524752
	s_mul_i32 s61, s60, s61                                    // 00000000A984: 923D3D3C
	s_add_u32 s82, s82, s61                                    // 00000000A988: 80523D52
	v_mul_lo_u32 v6, v5, s82                                   // 00000000A98C: D2850006 0000A505
	v_readlane_b32 s82, v3, 13                                 // 00000000A994: D2890052 00011B03
	s_lshr_b32 s61, s82, 24                                    // 00000000A99C: 8F3D9852
	s_and_b32 s82, s82, 0xffffff                               // 00000000A9A0: 8652FF52 00FFFFFF
	s_mul_i32 s82, s82, s71                                    // 00000000A9A8: 92524752
	s_mul_i32 s61, s60, s61                                    // 00000000A9AC: 923D3D3C
	s_add_u32 s82, s82, s61                                    // 00000000A9B0: 80523D52
	v_mul_lo_u32 v7, v4, s82                                   // 00000000A9B4: D2850007 0000A504
	v_add_u32_e32 v50, v6, v7                                  // 00000000A9BC: 68640F06
	v_readlane_b32 s82, v3, 14                                 // 00000000A9C0: D2890052 00011D03
	s_lshr_b32 s61, s82, 24                                    // 00000000A9C8: 8F3D9852
	s_and_b32 s82, s82, 0xffffff                               // 00000000A9CC: 8652FF52 00FFFFFF
	s_mul_i32 s82, s82, s71                                    // 00000000A9D4: 92524752
	s_mul_i32 s61, s60, s61                                    // 00000000A9D8: 923D3D3C
	s_add_u32 s82, s82, s61                                    // 00000000A9DC: 80523D52
	v_mul_lo_u32 v6, v5, s82                                   // 00000000A9E0: D2850006 0000A505
	v_readlane_b32 s82, v3, 15                                 // 00000000A9E8: D2890052 00011F03
	s_lshr_b32 s61, s82, 24                                    // 00000000A9F0: 8F3D9852
	s_and_b32 s82, s82, 0xffffff                               // 00000000A9F4: 8652FF52 00FFFFFF
	s_mul_i32 s82, s82, s71                                    // 00000000A9FC: 92524752
	s_mul_i32 s61, s60, s61                                    // 00000000AA00: 923D3D3C
	s_add_u32 s82, s82, s61                                    // 00000000AA04: 80523D52
	v_mul_lo_u32 v7, v4, s82                                   // 00000000AA08: D2850007 0000A504
	v_add_u32_e32 v51, v6, v7                                  // 00000000AA10: 68660F06
	v_and_b32_e32 v4, 31, v0                                   // 00000000AA14: 2608009F
	v_lshrrev_b32_e32 v4, 1, v4                                // 00000000AA18: 20080881
	s_cmp_eq_u32 s88, 0                                        // 00000000AA1C: BF068058
	s_cselect_b32 s61, 2, 4                                    // 00000000AA20: 853D8482
	v_mul_lo_u32 v4, v4, s61                                   // 00000000AA24: D2850004 00007B04
	v_and_b32_e64 v5, v0, 1                                    // 00000000AA2C: D1130005 00010300
	v_add_u32_e32 v4, v4, v5                                   // 00000000AA34: 68080B04
	v_lshlrev_b32_e32 v4, 2, v4                                // 00000000AA38: 24080882
	v_add_u32_e32 v44, v44, v4                                 // 00000000AA3C: 6858092C
	v_add_u32_e32 v45, v45, v4                                 // 00000000AA40: 685A092D
	v_add_u32_e32 v46, v46, v4                                 // 00000000AA44: 685C092E
	v_add_u32_e32 v47, v47, v4                                 // 00000000AA48: 685E092F
	v_add_u32_e32 v48, v48, v4                                 // 00000000AA4C: 68600930
	v_add_u32_e32 v49, v49, v4                                 // 00000000AA50: 68620931
	v_add_u32_e32 v50, v50, v4                                 // 00000000AA54: 68640932
	v_add_u32_e32 v51, v51, v4                                 // 00000000AA58: 68660933
	s_waitcnt lgkmcnt(0)                                       // 00000000AA5C: BF8CC07F
	s_barrier                                                  // 00000000AA60: BF8A0000
	ds_read_b32 v56, v21                                       // 00000000AA64: D86C0000 38000015
	ds_read_b32 v57, v21 offset:64                             // 00000000AA6C: D86C0040 39000015
	ds_read_b32 v58, v21 offset:2176                           // 00000000AA74: D86C0880 3A000015
	ds_read_b32 v59, v21 offset:2240                           // 00000000AA7C: D86C08C0 3B000015
	ds_read_b32 v60, v21 offset:4352                           // 00000000AA84: D86C1100 3C000015
	ds_read_b32 v61, v21 offset:4416                           // 00000000AA8C: D86C1140 3D000015
	ds_read_b32 v62, v21 offset:6528                           // 00000000AA94: D86C1980 3E000015
	ds_read_b32 v63, v21 offset:6592                           // 00000000AA9C: D86C19C0 3F000015
	ds_read_b32 v64, v21 offset:8704                           // 00000000AAA4: D86C2200 40000015
	ds_read_b32 v65, v21 offset:8768                           // 00000000AAAC: D86C2240 41000015
	ds_read_b32 v66, v21 offset:10880                          // 00000000AAB4: D86C2A80 42000015
	ds_read_b32 v67, v21 offset:10944                          // 00000000AABC: D86C2AC0 43000015
	ds_read_b32 v68, v21 offset:13056                          // 00000000AAC4: D86C3300 44000015
	ds_read_b32 v69, v21 offset:13120                          // 00000000AACC: D86C3340 45000015
	ds_read_b32 v70, v21 offset:15232                          // 00000000AAD4: D86C3B80 46000015
	ds_read_b32 v71, v21 offset:15296                          // 00000000AADC: D86C3BC0 47000015
	ds_read_b32 v72, v21 offset:17408                          // 00000000AAE4: D86C4400 48000015
	ds_read_b32 v73, v21 offset:17472                          // 00000000AAEC: D86C4440 49000015
	ds_read_b32 v74, v21 offset:19584                          // 00000000AAF4: D86C4C80 4A000015
	ds_read_b32 v75, v21 offset:19648                          // 00000000AAFC: D86C4CC0 4B000015
	ds_read_b32 v76, v21 offset:21760                          // 00000000AB04: D86C5500 4C000015
	ds_read_b32 v77, v21 offset:21824                          // 00000000AB0C: D86C5540 4D000015
	ds_read_b32 v78, v21 offset:23936                          // 00000000AB14: D86C5D80 4E000015
	ds_read_b32 v79, v21 offset:24000                          // 00000000AB1C: D86C5DC0 4F000015
	ds_read_b32 v80, v21 offset:26112                          // 00000000AB24: D86C6600 50000015
	ds_read_b32 v81, v21 offset:26176                          // 00000000AB2C: D86C6640 51000015
	ds_read_b32 v82, v21 offset:28288                          // 00000000AB34: D86C6E80 52000015
	ds_read_b32 v83, v21 offset:28352                          // 00000000AB3C: D86C6EC0 53000015
	ds_read_b32 v84, v21 offset:30464                          // 00000000AB44: D86C7700 54000015
	ds_read_b32 v85, v21 offset:30528                          // 00000000AB4C: D86C7740 55000015
	ds_read_b32 v86, v21 offset:32640                          // 00000000AB54: D86C7F80 56000015
	ds_read_b32 v87, v21 offset:32704                          // 00000000AB5C: D86C7FC0 57000015
	s_waitcnt lgkmcnt(0)                                       // 00000000AB64: BF8CC07F
	s_mov_b32 s36, -1                                          // 00000000AB68: BEA400C1
	s_mov_b32 s37, -1                                          // 00000000AB6C: BEA500C1
	v_mov_b32_e32 v7, 0                                        // 00000000AB70: 7E0E0280
	s_or_b32 s9, s9, 0x40000                                   // 00000000AB74: 8709FF09 00040000
	s_mov_b64 exec, s[36:37]                                   // 00000000AB7C: BEFE0124
	v_mov_b32_e32 v6, v44                                      // 00000000AB80: 7E0C032C
	s_mov_b64 s[60:61], 0                                      // 00000000AB84: BEBC0180
	v_readlane_b32 s82, v3, 0                                  // 00000000AB88: D2890052 00010103
	s_and_b32 s82, s82, 0xffffff                               // 00000000AB90: 8652FF52 00FFFFFF
	s_cmp_lt_u32 s82, s66                                      // 00000000AB98: BF0A4252
	s_cselect_b32 s20, s36, s60                                // 00000000AB9C: 85143C24
	v_readlane_b32 s82, v3, 1                                  // 00000000ABA0: D2890052 00010303
	s_and_b32 s82, s82, 0xffffff                               // 00000000ABA8: 8652FF52 00FFFFFF
	s_cmp_lt_u32 s82, s66                                      // 00000000ABB0: BF0A4252
	s_cselect_b32 s21, s36, s60                                // 00000000ABB4: 85153C24
	s_mov_b64 exec, s[20:21]                                   // 00000000ABB8: BEFE0114
	buffer_store_dword v56, v6, s[8:11], 0 offen               // 00000000ABBC: E0701000 80023806
	buffer_store_dword v58, v6, s[8:11], 0 offen offset:128    // 00000000ABC4: E0701080 80023A06
	buffer_store_dword v60, v6, s[8:11], 0 offen offset:256    // 00000000ABCC: E0701100 80023C06
	buffer_store_dword v62, v6, s[8:11], 0 offen offset:384    // 00000000ABD4: E0701180 80023E06
	s_mov_b64 exec, s[36:37]                                   // 00000000ABDC: BEFE0124
	v_mov_b32_e32 v6, v45                                      // 00000000ABE0: 7E0C032D
	s_mov_b64 s[60:61], 0                                      // 00000000ABE4: BEBC0180
	v_readlane_b32 s82, v3, 2                                  // 00000000ABE8: D2890052 00010503
	s_and_b32 s82, s82, 0xffffff                               // 00000000ABF0: 8652FF52 00FFFFFF
	s_cmp_lt_u32 s82, s66                                      // 00000000ABF8: BF0A4252
	s_cselect_b32 s20, s36, s60                                // 00000000ABFC: 85143C24
	v_readlane_b32 s82, v3, 3                                  // 00000000AC00: D2890052 00010703
	s_and_b32 s82, s82, 0xffffff                               // 00000000AC08: 8652FF52 00FFFFFF
	s_cmp_lt_u32 s82, s66                                      // 00000000AC10: BF0A4252
	s_cselect_b32 s21, s36, s60                                // 00000000AC14: 85153C24
	s_mov_b64 exec, s[20:21]                                   // 00000000AC18: BEFE0114
	buffer_store_dword v57, v6, s[8:11], 0 offen               // 00000000AC1C: E0701000 80023906
	buffer_store_dword v59, v6, s[8:11], 0 offen offset:128    // 00000000AC24: E0701080 80023B06
	buffer_store_dword v61, v6, s[8:11], 0 offen offset:256    // 00000000AC2C: E0701100 80023D06
	buffer_store_dword v63, v6, s[8:11], 0 offen offset:384    // 00000000AC34: E0701180 80023F06
	s_mov_b64 exec, s[36:37]                                   // 00000000AC3C: BEFE0124
	v_mov_b32_e32 v6, v46                                      // 00000000AC40: 7E0C032E
	s_mov_b64 s[60:61], 0                                      // 00000000AC44: BEBC0180
	v_readlane_b32 s82, v3, 4                                  // 00000000AC48: D2890052 00010903
	s_and_b32 s82, s82, 0xffffff                               // 00000000AC50: 8652FF52 00FFFFFF
	s_cmp_lt_u32 s82, s66                                      // 00000000AC58: BF0A4252
	s_cselect_b32 s20, s36, s60                                // 00000000AC5C: 85143C24
	v_readlane_b32 s82, v3, 5                                  // 00000000AC60: D2890052 00010B03
	s_and_b32 s82, s82, 0xffffff                               // 00000000AC68: 8652FF52 00FFFFFF
	s_cmp_lt_u32 s82, s66                                      // 00000000AC70: BF0A4252
	s_cselect_b32 s21, s36, s60                                // 00000000AC74: 85153C24
	s_mov_b64 exec, s[20:21]                                   // 00000000AC78: BEFE0114
	buffer_store_dword v64, v6, s[8:11], 0 offen               // 00000000AC7C: E0701000 80024006
	buffer_store_dword v66, v6, s[8:11], 0 offen offset:128    // 00000000AC84: E0701080 80024206
	buffer_store_dword v68, v6, s[8:11], 0 offen offset:256    // 00000000AC8C: E0701100 80024406
	buffer_store_dword v70, v6, s[8:11], 0 offen offset:384    // 00000000AC94: E0701180 80024606
	s_mov_b64 exec, s[36:37]                                   // 00000000AC9C: BEFE0124
	v_mov_b32_e32 v6, v47                                      // 00000000ACA0: 7E0C032F
	s_mov_b64 s[60:61], 0                                      // 00000000ACA4: BEBC0180
	v_readlane_b32 s82, v3, 6                                  // 00000000ACA8: D2890052 00010D03
	s_and_b32 s82, s82, 0xffffff                               // 00000000ACB0: 8652FF52 00FFFFFF
	s_cmp_lt_u32 s82, s66                                      // 00000000ACB8: BF0A4252
	s_cselect_b32 s20, s36, s60                                // 00000000ACBC: 85143C24
	v_readlane_b32 s82, v3, 7                                  // 00000000ACC0: D2890052 00010F03
	s_and_b32 s82, s82, 0xffffff                               // 00000000ACC8: 8652FF52 00FFFFFF
	s_cmp_lt_u32 s82, s66                                      // 00000000ACD0: BF0A4252
	s_cselect_b32 s21, s36, s60                                // 00000000ACD4: 85153C24
	s_mov_b64 exec, s[20:21]                                   // 00000000ACD8: BEFE0114
	buffer_store_dword v65, v6, s[8:11], 0 offen               // 00000000ACDC: E0701000 80024106
	buffer_store_dword v67, v6, s[8:11], 0 offen offset:128    // 00000000ACE4: E0701080 80024306
	buffer_store_dword v69, v6, s[8:11], 0 offen offset:256    // 00000000ACEC: E0701100 80024506
	buffer_store_dword v71, v6, s[8:11], 0 offen offset:384    // 00000000ACF4: E0701180 80024706
	s_mov_b64 exec, s[36:37]                                   // 00000000ACFC: BEFE0124
	v_mov_b32_e32 v6, v48                                      // 00000000AD00: 7E0C0330
	s_mov_b64 s[60:61], 0                                      // 00000000AD04: BEBC0180
	v_readlane_b32 s82, v3, 8                                  // 00000000AD08: D2890052 00011103
	s_and_b32 s82, s82, 0xffffff                               // 00000000AD10: 8652FF52 00FFFFFF
	s_cmp_lt_u32 s82, s66                                      // 00000000AD18: BF0A4252
	s_cselect_b32 s20, s36, s60                                // 00000000AD1C: 85143C24
	v_readlane_b32 s82, v3, 9                                  // 00000000AD20: D2890052 00011303
	s_and_b32 s82, s82, 0xffffff                               // 00000000AD28: 8652FF52 00FFFFFF
	s_cmp_lt_u32 s82, s66                                      // 00000000AD30: BF0A4252
	s_cselect_b32 s21, s36, s60                                // 00000000AD34: 85153C24
	s_mov_b64 exec, s[20:21]                                   // 00000000AD38: BEFE0114
	buffer_store_dword v72, v6, s[8:11], 0 offen               // 00000000AD3C: E0701000 80024806
	buffer_store_dword v74, v6, s[8:11], 0 offen offset:128    // 00000000AD44: E0701080 80024A06
	buffer_store_dword v76, v6, s[8:11], 0 offen offset:256    // 00000000AD4C: E0701100 80024C06
	buffer_store_dword v78, v6, s[8:11], 0 offen offset:384    // 00000000AD54: E0701180 80024E06
	s_mov_b64 exec, s[36:37]                                   // 00000000AD5C: BEFE0124
	v_mov_b32_e32 v6, v49                                      // 00000000AD60: 7E0C0331
	s_mov_b64 s[60:61], 0                                      // 00000000AD64: BEBC0180
	v_readlane_b32 s82, v3, 10                                 // 00000000AD68: D2890052 00011503
	s_and_b32 s82, s82, 0xffffff                               // 00000000AD70: 8652FF52 00FFFFFF
	s_cmp_lt_u32 s82, s66                                      // 00000000AD78: BF0A4252
	s_cselect_b32 s20, s36, s60                                // 00000000AD7C: 85143C24
	v_readlane_b32 s82, v3, 11                                 // 00000000AD80: D2890052 00011703
	s_and_b32 s82, s82, 0xffffff                               // 00000000AD88: 8652FF52 00FFFFFF
	s_cmp_lt_u32 s82, s66                                      // 00000000AD90: BF0A4252
	s_cselect_b32 s21, s36, s60                                // 00000000AD94: 85153C24
	s_mov_b64 exec, s[20:21]                                   // 00000000AD98: BEFE0114
	buffer_store_dword v73, v6, s[8:11], 0 offen               // 00000000AD9C: E0701000 80024906
	buffer_store_dword v75, v6, s[8:11], 0 offen offset:128    // 00000000ADA4: E0701080 80024B06
	buffer_store_dword v77, v6, s[8:11], 0 offen offset:256    // 00000000ADAC: E0701100 80024D06
	buffer_store_dword v79, v6, s[8:11], 0 offen offset:384    // 00000000ADB4: E0701180 80024F06
	s_mov_b64 exec, s[36:37]                                   // 00000000ADBC: BEFE0124
	v_mov_b32_e32 v6, v50                                      // 00000000ADC0: 7E0C0332
	s_mov_b64 s[60:61], 0                                      // 00000000ADC4: BEBC0180
	v_readlane_b32 s82, v3, 12                                 // 00000000ADC8: D2890052 00011903
	s_and_b32 s82, s82, 0xffffff                               // 00000000ADD0: 8652FF52 00FFFFFF
	s_cmp_lt_u32 s82, s66                                      // 00000000ADD8: BF0A4252
	s_cselect_b32 s20, s36, s60                                // 00000000ADDC: 85143C24
	v_readlane_b32 s82, v3, 13                                 // 00000000ADE0: D2890052 00011B03
	s_and_b32 s82, s82, 0xffffff                               // 00000000ADE8: 8652FF52 00FFFFFF
	s_cmp_lt_u32 s82, s66                                      // 00000000ADF0: BF0A4252
	s_cselect_b32 s21, s36, s60                                // 00000000ADF4: 85153C24
	s_mov_b64 exec, s[20:21]                                   // 00000000ADF8: BEFE0114
	buffer_store_dword v80, v6, s[8:11], 0 offen               // 00000000ADFC: E0701000 80025006
	buffer_store_dword v82, v6, s[8:11], 0 offen offset:128    // 00000000AE04: E0701080 80025206
	buffer_store_dword v84, v6, s[8:11], 0 offen offset:256    // 00000000AE0C: E0701100 80025406
	buffer_store_dword v86, v6, s[8:11], 0 offen offset:384    // 00000000AE14: E0701180 80025606
	s_mov_b64 exec, s[36:37]                                   // 00000000AE1C: BEFE0124
	v_mov_b32_e32 v6, v51                                      // 00000000AE20: 7E0C0333
	s_mov_b64 s[60:61], 0                                      // 00000000AE24: BEBC0180
	v_readlane_b32 s82, v3, 14                                 // 00000000AE28: D2890052 00011D03
	s_and_b32 s82, s82, 0xffffff                               // 00000000AE30: 8652FF52 00FFFFFF
	s_cmp_lt_u32 s82, s66                                      // 00000000AE38: BF0A4252
	s_cselect_b32 s20, s36, s60                                // 00000000AE3C: 85143C24
	v_readlane_b32 s82, v3, 15                                 // 00000000AE40: D2890052 00011F03
	s_and_b32 s82, s82, 0xffffff                               // 00000000AE48: 8652FF52 00FFFFFF
	s_cmp_lt_u32 s82, s66                                      // 00000000AE50: BF0A4252
	s_cselect_b32 s21, s36, s60                                // 00000000AE54: 85153C24
	s_mov_b64 exec, s[20:21]                                   // 00000000AE58: BEFE0114
	buffer_store_dword v81, v6, s[8:11], 0 offen               // 00000000AE5C: E0701000 80025106
	buffer_store_dword v83, v6, s[8:11], 0 offen offset:128    // 00000000AE64: E0701080 80025306
	buffer_store_dword v85, v6, s[8:11], 0 offen offset:256    // 00000000AE6C: E0701100 80025506
	buffer_store_dword v87, v6, s[8:11], 0 offen offset:384    // 00000000AE74: E0701180 80025706
	s_mov_b64 exec, s[36:37]                                   // 00000000AE7C: BEFE0124
	s_branch label_267E                                        // 00000000AE80: BF82055A

000000000000ae84 <label_2124>:
	ds_write_b64 v20, v[56:57]                                 // 00000000AE84: D89A0000 00003814
	ds_write_b64 v20, v[60:61] offset:8704                     // 00000000AE8C: D89A2200 00003C14
	ds_write_b64 v20, v[64:65] offset:17408                    // 00000000AE94: D89A4400 00004014
	ds_write_b64 v20, v[68:69] offset:26112                    // 00000000AE9C: D89A6600 00004414
	ds_write_b64 v20, v[72:73] offset:2176                     // 00000000AEA4: D89A0880 00004814
	ds_write_b64 v20, v[76:77] offset:10880                    // 00000000AEAC: D89A2A80 00004C14
	ds_write_b64 v20, v[80:81] offset:19584                    // 00000000AEB4: D89A4C80 00005014
	ds_write_b64 v20, v[84:85] offset:28288                    // 00000000AEBC: D89A6E80 00005414
	ds_write_b64 v20, v[88:89] offset:4352                     // 00000000AEC4: D89A1100 00005814
	ds_write_b64 v20, v[92:93] offset:13056                    // 00000000AECC: D89A3300 00005C14
	ds_write_b64 v20, v[96:97] offset:21760                    // 00000000AED4: D89A5500 00006014
	ds_write_b64 v20, v[100:101] offset:30464                  // 00000000AEDC: D89A7700 00006414
	ds_write_b64 v20, v[104:105] offset:6528                   // 00000000AEE4: D89A1980 00006814
	ds_write_b64 v20, v[108:109] offset:15232                  // 00000000AEEC: D89A3B80 00006C14
	ds_write_b64 v20, v[112:113] offset:23936                  // 00000000AEF4: D89A5D80 00007014
	ds_write_b64 v20, v[116:117] offset:32640                  // 00000000AEFC: D89A7F80 00007414
	v_lshrrev_b32_e32 v4, 5, v0                                // 00000000AF04: 20080085
	v_xor_b32_e32 v5, 1, v4                                    // 00000000AF08: 2A0A0881
	s_mul_i32 s60, s65, 2                                      // 00000000AF0C: 923C8241
	s_cmp_eq_u32 s88, 0                                        // 00000000AF10: BF068058
	s_cselect_b32 s61, 1, 4                                    // 00000000AF14: 853D8481
	s_mul_i32 s60, s61, s60                                    // 00000000AF18: 923C3C3D
	v_readlane_b32 s82, v3, 0                                  // 00000000AF1C: D2890052 00010103
	s_lshr_b32 s61, s82, 24                                    // 00000000AF24: 8F3D9852
	s_and_b32 s82, s82, 0xffffff                               // 00000000AF28: 8652FF52 00FFFFFF
	s_mul_i32 s82, s82, s71                                    // 00000000AF30: 92524752
	s_mul_i32 s61, s60, s61                                    // 00000000AF34: 923D3D3C
	s_add_u32 s82, s82, s61                                    // 00000000AF38: 80523D52
	v_mul_lo_u32 v6, v5, s82                                   // 00000000AF3C: D2850006 0000A505
	v_readlane_b32 s82, v3, 1                                  // 00000000AF44: D2890052 00010303
	s_lshr_b32 s61, s82, 24                                    // 00000000AF4C: 8F3D9852
	s_and_b32 s82, s82, 0xffffff                               // 00000000AF50: 8652FF52 00FFFFFF
	s_mul_i32 s82, s82, s71                                    // 00000000AF58: 92524752
	s_mul_i32 s61, s60, s61                                    // 00000000AF5C: 923D3D3C
	s_add_u32 s82, s82, s61                                    // 00000000AF60: 80523D52
	v_mul_lo_u32 v7, v4, s82                                   // 00000000AF64: D2850007 0000A504
	v_add_u32_e32 v44, v6, v7                                  // 00000000AF6C: 68580F06
	v_readlane_b32 s82, v3, 2                                  // 00000000AF70: D2890052 00010503
	s_lshr_b32 s61, s82, 24                                    // 00000000AF78: 8F3D9852
	s_and_b32 s82, s82, 0xffffff                               // 00000000AF7C: 8652FF52 00FFFFFF
	s_mul_i32 s82, s82, s71                                    // 00000000AF84: 92524752
	s_mul_i32 s61, s60, s61                                    // 00000000AF88: 923D3D3C
	s_add_u32 s82, s82, s61                                    // 00000000AF8C: 80523D52
	v_mul_lo_u32 v6, v5, s82                                   // 00000000AF90: D2850006 0000A505
	v_readlane_b32 s82, v3, 3                                  // 00000000AF98: D2890052 00010703
	s_lshr_b32 s61, s82, 24                                    // 00000000AFA0: 8F3D9852
	s_and_b32 s82, s82, 0xffffff                               // 00000000AFA4: 8652FF52 00FFFFFF
	s_mul_i32 s82, s82, s71                                    // 00000000AFAC: 92524752
	s_mul_i32 s61, s60, s61                                    // 00000000AFB0: 923D3D3C
	s_add_u32 s82, s82, s61                                    // 00000000AFB4: 80523D52
	v_mul_lo_u32 v7, v4, s82                                   // 00000000AFB8: D2850007 0000A504
	v_add_u32_e32 v45, v6, v7                                  // 00000000AFC0: 685A0F06
	v_readlane_b32 s82, v3, 4                                  // 00000000AFC4: D2890052 00010903
	s_lshr_b32 s61, s82, 24                                    // 00000000AFCC: 8F3D9852
	s_and_b32 s82, s82, 0xffffff                               // 00000000AFD0: 8652FF52 00FFFFFF
	s_mul_i32 s82, s82, s71                                    // 00000000AFD8: 92524752
	s_mul_i32 s61, s60, s61                                    // 00000000AFDC: 923D3D3C
	s_add_u32 s82, s82, s61                                    // 00000000AFE0: 80523D52
	v_mul_lo_u32 v6, v5, s82                                   // 00000000AFE4: D2850006 0000A505
	v_readlane_b32 s82, v3, 5                                  // 00000000AFEC: D2890052 00010B03
	s_lshr_b32 s61, s82, 24                                    // 00000000AFF4: 8F3D9852
	s_and_b32 s82, s82, 0xffffff                               // 00000000AFF8: 8652FF52 00FFFFFF
	s_mul_i32 s82, s82, s71                                    // 00000000B000: 92524752
	s_mul_i32 s61, s60, s61                                    // 00000000B004: 923D3D3C
	s_add_u32 s82, s82, s61                                    // 00000000B008: 80523D52
	v_mul_lo_u32 v7, v4, s82                                   // 00000000B00C: D2850007 0000A504
	v_add_u32_e32 v46, v6, v7                                  // 00000000B014: 685C0F06
	v_readlane_b32 s82, v3, 6                                  // 00000000B018: D2890052 00010D03
	s_lshr_b32 s61, s82, 24                                    // 00000000B020: 8F3D9852
	s_and_b32 s82, s82, 0xffffff                               // 00000000B024: 8652FF52 00FFFFFF
	s_mul_i32 s82, s82, s71                                    // 00000000B02C: 92524752
	s_mul_i32 s61, s60, s61                                    // 00000000B030: 923D3D3C
	s_add_u32 s82, s82, s61                                    // 00000000B034: 80523D52
	v_mul_lo_u32 v6, v5, s82                                   // 00000000B038: D2850006 0000A505
	v_readlane_b32 s82, v3, 7                                  // 00000000B040: D2890052 00010F03
	s_lshr_b32 s61, s82, 24                                    // 00000000B048: 8F3D9852
	s_and_b32 s82, s82, 0xffffff                               // 00000000B04C: 8652FF52 00FFFFFF
	s_mul_i32 s82, s82, s71                                    // 00000000B054: 92524752
	s_mul_i32 s61, s60, s61                                    // 00000000B058: 923D3D3C
	s_add_u32 s82, s82, s61                                    // 00000000B05C: 80523D52
	v_mul_lo_u32 v7, v4, s82                                   // 00000000B060: D2850007 0000A504
	v_add_u32_e32 v47, v6, v7                                  // 00000000B068: 685E0F06
	v_readlane_b32 s82, v3, 8                                  // 00000000B06C: D2890052 00011103
	s_lshr_b32 s61, s82, 24                                    // 00000000B074: 8F3D9852
	s_and_b32 s82, s82, 0xffffff                               // 00000000B078: 8652FF52 00FFFFFF
	s_mul_i32 s82, s82, s71                                    // 00000000B080: 92524752
	s_mul_i32 s61, s60, s61                                    // 00000000B084: 923D3D3C
	s_add_u32 s82, s82, s61                                    // 00000000B088: 80523D52
	v_mul_lo_u32 v6, v5, s82                                   // 00000000B08C: D2850006 0000A505
	v_readlane_b32 s82, v3, 9                                  // 00000000B094: D2890052 00011303
	s_lshr_b32 s61, s82, 24                                    // 00000000B09C: 8F3D9852
	s_and_b32 s82, s82, 0xffffff                               // 00000000B0A0: 8652FF52 00FFFFFF
	s_mul_i32 s82, s82, s71                                    // 00000000B0A8: 92524752
	s_mul_i32 s61, s60, s61                                    // 00000000B0AC: 923D3D3C
	s_add_u32 s82, s82, s61                                    // 00000000B0B0: 80523D52
	v_mul_lo_u32 v7, v4, s82                                   // 00000000B0B4: D2850007 0000A504
	v_add_u32_e32 v48, v6, v7                                  // 00000000B0BC: 68600F06
	v_readlane_b32 s82, v3, 10                                 // 00000000B0C0: D2890052 00011503
	s_lshr_b32 s61, s82, 24                                    // 00000000B0C8: 8F3D9852
	s_and_b32 s82, s82, 0xffffff                               // 00000000B0CC: 8652FF52 00FFFFFF
	s_mul_i32 s82, s82, s71                                    // 00000000B0D4: 92524752
	s_mul_i32 s61, s60, s61                                    // 00000000B0D8: 923D3D3C
	s_add_u32 s82, s82, s61                                    // 00000000B0DC: 80523D52
	v_mul_lo_u32 v6, v5, s82                                   // 00000000B0E0: D2850006 0000A505
	v_readlane_b32 s82, v3, 11                                 // 00000000B0E8: D2890052 00011703
	s_lshr_b32 s61, s82, 24                                    // 00000000B0F0: 8F3D9852
	s_and_b32 s82, s82, 0xffffff                               // 00000000B0F4: 8652FF52 00FFFFFF
	s_mul_i32 s82, s82, s71                                    // 00000000B0FC: 92524752
	s_mul_i32 s61, s60, s61                                    // 00000000B100: 923D3D3C
	s_add_u32 s82, s82, s61                                    // 00000000B104: 80523D52
	v_mul_lo_u32 v7, v4, s82                                   // 00000000B108: D2850007 0000A504
	v_add_u32_e32 v49, v6, v7                                  // 00000000B110: 68620F06
	v_readlane_b32 s82, v3, 12                                 // 00000000B114: D2890052 00011903
	s_lshr_b32 s61, s82, 24                                    // 00000000B11C: 8F3D9852
	s_and_b32 s82, s82, 0xffffff                               // 00000000B120: 8652FF52 00FFFFFF
	s_mul_i32 s82, s82, s71                                    // 00000000B128: 92524752
	s_mul_i32 s61, s60, s61                                    // 00000000B12C: 923D3D3C
	s_add_u32 s82, s82, s61                                    // 00000000B130: 80523D52
	v_mul_lo_u32 v6, v5, s82                                   // 00000000B134: D2850006 0000A505
	v_readlane_b32 s82, v3, 13                                 // 00000000B13C: D2890052 00011B03
	s_lshr_b32 s61, s82, 24                                    // 00000000B144: 8F3D9852
	s_and_b32 s82, s82, 0xffffff                               // 00000000B148: 8652FF52 00FFFFFF
	s_mul_i32 s82, s82, s71                                    // 00000000B150: 92524752
	s_mul_i32 s61, s60, s61                                    // 00000000B154: 923D3D3C
	s_add_u32 s82, s82, s61                                    // 00000000B158: 80523D52
	v_mul_lo_u32 v7, v4, s82                                   // 00000000B15C: D2850007 0000A504
	v_add_u32_e32 v50, v6, v7                                  // 00000000B164: 68640F06
	v_readlane_b32 s82, v3, 14                                 // 00000000B168: D2890052 00011D03
	s_lshr_b32 s61, s82, 24                                    // 00000000B170: 8F3D9852
	s_and_b32 s82, s82, 0xffffff                               // 00000000B174: 8652FF52 00FFFFFF
	s_mul_i32 s82, s82, s71                                    // 00000000B17C: 92524752
	s_mul_i32 s61, s60, s61                                    // 00000000B180: 923D3D3C
	s_add_u32 s82, s82, s61                                    // 00000000B184: 80523D52
	v_mul_lo_u32 v6, v5, s82                                   // 00000000B188: D2850006 0000A505
	v_readlane_b32 s82, v3, 15                                 // 00000000B190: D2890052 00011F03
	s_lshr_b32 s61, s82, 24                                    // 00000000B198: 8F3D9852
	s_and_b32 s82, s82, 0xffffff                               // 00000000B19C: 8652FF52 00FFFFFF
	s_mul_i32 s82, s82, s71                                    // 00000000B1A4: 92524752
	s_mul_i32 s61, s60, s61                                    // 00000000B1A8: 923D3D3C
	s_add_u32 s82, s82, s61                                    // 00000000B1AC: 80523D52
	v_mul_lo_u32 v7, v4, s82                                   // 00000000B1B0: D2850007 0000A504
	v_add_u32_e32 v51, v6, v7                                  // 00000000B1B8: 68660F06
	v_and_b32_e32 v4, 31, v0                                   // 00000000B1BC: 2608009F
	v_lshrrev_b32_e32 v4, 1, v4                                // 00000000B1C0: 20080881
	s_cmp_eq_u32 s88, 0                                        // 00000000B1C4: BF068058
	s_cselect_b32 s61, 2, 4                                    // 00000000B1C8: 853D8482
	v_mul_lo_u32 v4, v4, s61                                   // 00000000B1CC: D2850004 00007B04
	v_and_b32_e64 v5, v0, 1                                    // 00000000B1D4: D1130005 00010300
	v_add_u32_e32 v4, v4, v5                                   // 00000000B1DC: 68080B04
	v_lshlrev_b32_e32 v4, 2, v4                                // 00000000B1E0: 24080882
	v_add_u32_e32 v44, v44, v4                                 // 00000000B1E4: 6858092C
	v_add_u32_e32 v45, v45, v4                                 // 00000000B1E8: 685A092D
	v_add_u32_e32 v46, v46, v4                                 // 00000000B1EC: 685C092E
	v_add_u32_e32 v47, v47, v4                                 // 00000000B1F0: 685E092F
	v_add_u32_e32 v48, v48, v4                                 // 00000000B1F4: 68600930
	v_add_u32_e32 v49, v49, v4                                 // 00000000B1F8: 68620931
	v_add_u32_e32 v50, v50, v4                                 // 00000000B1FC: 68640932
	v_add_u32_e32 v51, v51, v4                                 // 00000000B200: 68660933
	s_waitcnt lgkmcnt(0)                                       // 00000000B204: BF8CC07F
	s_barrier                                                  // 00000000B208: BF8A0000
	ds_read_b32 v56, v21                                       // 00000000B20C: D86C0000 38000015
	ds_read_b32 v57, v21 offset:64                             // 00000000B214: D86C0040 39000015
	ds_read_b32 v60, v21 offset:2176                           // 00000000B21C: D86C0880 3C000015
	ds_read_b32 v61, v21 offset:2240                           // 00000000B224: D86C08C0 3D000015
	ds_read_b32 v64, v21 offset:4352                           // 00000000B22C: D86C1100 40000015
	ds_read_b32 v65, v21 offset:4416                           // 00000000B234: D86C1140 41000015
	ds_read_b32 v68, v21 offset:6528                           // 00000000B23C: D86C1980 44000015
	ds_read_b32 v69, v21 offset:6592                           // 00000000B244: D86C19C0 45000015
	ds_read_b32 v72, v21 offset:8704                           // 00000000B24C: D86C2200 48000015
	ds_read_b32 v73, v21 offset:8768                           // 00000000B254: D86C2240 49000015
	ds_read_b32 v76, v21 offset:10880                          // 00000000B25C: D86C2A80 4C000015
	ds_read_b32 v77, v21 offset:10944                          // 00000000B264: D86C2AC0 4D000015
	ds_read_b32 v80, v21 offset:13056                          // 00000000B26C: D86C3300 50000015
	ds_read_b32 v81, v21 offset:13120                          // 00000000B274: D86C3340 51000015
	ds_read_b32 v84, v21 offset:15232                          // 00000000B27C: D86C3B80 54000015
	ds_read_b32 v85, v21 offset:15296                          // 00000000B284: D86C3BC0 55000015
	ds_read_b32 v88, v21 offset:17408                          // 00000000B28C: D86C4400 58000015
	ds_read_b32 v89, v21 offset:17472                          // 00000000B294: D86C4440 59000015
	ds_read_b32 v92, v21 offset:19584                          // 00000000B29C: D86C4C80 5C000015
	ds_read_b32 v93, v21 offset:19648                          // 00000000B2A4: D86C4CC0 5D000015
	ds_read_b32 v96, v21 offset:21760                          // 00000000B2AC: D86C5500 60000015
	ds_read_b32 v97, v21 offset:21824                          // 00000000B2B4: D86C5540 61000015
	ds_read_b32 v100, v21 offset:23936                         // 00000000B2BC: D86C5D80 64000015
	ds_read_b32 v101, v21 offset:24000                         // 00000000B2C4: D86C5DC0 65000015
	ds_read_b32 v104, v21 offset:26112                         // 00000000B2CC: D86C6600 68000015
	ds_read_b32 v105, v21 offset:26176                         // 00000000B2D4: D86C6640 69000015
	ds_read_b32 v108, v21 offset:28288                         // 00000000B2DC: D86C6E80 6C000015
	ds_read_b32 v109, v21 offset:28352                         // 00000000B2E4: D86C6EC0 6D000015
	ds_read_b32 v112, v21 offset:30464                         // 00000000B2EC: D86C7700 70000015
	ds_read_b32 v113, v21 offset:30528                         // 00000000B2F4: D86C7740 71000015
	ds_read_b32 v116, v21 offset:32640                         // 00000000B2FC: D86C7F80 74000015
	ds_read_b32 v117, v21 offset:32704                         // 00000000B304: D86C7FC0 75000015
	s_waitcnt lgkmcnt(0)                                       // 00000000B30C: BF8CC07F
	s_mov_b32 s36, -1                                          // 00000000B310: BEA400C1
	s_mov_b32 s37, -1                                          // 00000000B314: BEA500C1
	v_mov_b32_e32 v7, 0                                        // 00000000B318: 7E0E0280
	s_mov_b64 exec, s[36:37]                                   // 00000000B31C: BEFE0124
	v_mov_b32_e32 v6, v44                                      // 00000000B320: 7E0C032C
	s_mov_b64 s[60:61], 0                                      // 00000000B324: BEBC0180
	v_readlane_b32 s82, v3, 0                                  // 00000000B328: D2890052 00010103
	s_and_b32 s82, s82, 0xffffff                               // 00000000B330: 8652FF52 00FFFFFF
	s_cmp_lt_u32 s82, s66                                      // 00000000B338: BF0A4252
	s_cselect_b32 s20, s36, s60                                // 00000000B33C: 85143C24
	v_readlane_b32 s82, v3, 1                                  // 00000000B340: D2890052 00010303
	s_and_b32 s82, s82, 0xffffff                               // 00000000B348: 8652FF52 00FFFFFF
	s_cmp_lt_u32 s82, s66                                      // 00000000B350: BF0A4252
	s_cselect_b32 s21, s36, s60                                // 00000000B354: 85153C24
	s_mov_b64 exec, s[20:21]                                   // 00000000B358: BEFE0114
	global_atomic_add_f32 v6, v56, s[8:9]                      // 00000000B35C: DD348000 00083806
	global_atomic_add_f32 v6, v60, s[8:9] offset:256           // 00000000B364: DD348100 00083C06
	global_atomic_add_f32 v6, v64, s[8:9] offset:512           // 00000000B36C: DD348200 00084006
	global_atomic_add_f32 v6, v68, s[8:9] offset:768           // 00000000B374: DD348300 00084406
	s_mov_b64 exec, s[36:37]                                   // 00000000B37C: BEFE0124
	v_mov_b32_e32 v6, v45                                      // 00000000B380: 7E0C032D
	s_mov_b64 s[60:61], 0                                      // 00000000B384: BEBC0180
	v_readlane_b32 s82, v3, 2                                  // 00000000B388: D2890052 00010503
	s_and_b32 s82, s82, 0xffffff                               // 00000000B390: 8652FF52 00FFFFFF
	s_cmp_lt_u32 s82, s66                                      // 00000000B398: BF0A4252
	s_cselect_b32 s20, s36, s60                                // 00000000B39C: 85143C24
	v_readlane_b32 s82, v3, 3                                  // 00000000B3A0: D2890052 00010703
	s_and_b32 s82, s82, 0xffffff                               // 00000000B3A8: 8652FF52 00FFFFFF
	s_cmp_lt_u32 s82, s66                                      // 00000000B3B0: BF0A4252
	s_cselect_b32 s21, s36, s60                                // 00000000B3B4: 85153C24
	s_mov_b64 exec, s[20:21]                                   // 00000000B3B8: BEFE0114
	global_atomic_add_f32 v6, v57, s[8:9]                      // 00000000B3BC: DD348000 00083906
	global_atomic_add_f32 v6, v61, s[8:9] offset:256           // 00000000B3C4: DD348100 00083D06
	global_atomic_add_f32 v6, v65, s[8:9] offset:512           // 00000000B3CC: DD348200 00084106
	global_atomic_add_f32 v6, v69, s[8:9] offset:768           // 00000000B3D4: DD348300 00084506
	s_mov_b64 exec, s[36:37]                                   // 00000000B3DC: BEFE0124
	v_mov_b32_e32 v6, v46                                      // 00000000B3E0: 7E0C032E
	s_mov_b64 s[60:61], 0                                      // 00000000B3E4: BEBC0180
	v_readlane_b32 s82, v3, 4                                  // 00000000B3E8: D2890052 00010903
	s_and_b32 s82, s82, 0xffffff                               // 00000000B3F0: 8652FF52 00FFFFFF
	s_cmp_lt_u32 s82, s66                                      // 00000000B3F8: BF0A4252
	s_cselect_b32 s20, s36, s60                                // 00000000B3FC: 85143C24
	v_readlane_b32 s82, v3, 5                                  // 00000000B400: D2890052 00010B03
	s_and_b32 s82, s82, 0xffffff                               // 00000000B408: 8652FF52 00FFFFFF
	s_cmp_lt_u32 s82, s66                                      // 00000000B410: BF0A4252
	s_cselect_b32 s21, s36, s60                                // 00000000B414: 85153C24
	s_mov_b64 exec, s[20:21]                                   // 00000000B418: BEFE0114
	global_atomic_add_f32 v6, v72, s[8:9]                      // 00000000B41C: DD348000 00084806
	global_atomic_add_f32 v6, v76, s[8:9] offset:256           // 00000000B424: DD348100 00084C06
	global_atomic_add_f32 v6, v80, s[8:9] offset:512           // 00000000B42C: DD348200 00085006
	global_atomic_add_f32 v6, v84, s[8:9] offset:768           // 00000000B434: DD348300 00085406
	s_mov_b64 exec, s[36:37]                                   // 00000000B43C: BEFE0124
	v_mov_b32_e32 v6, v47                                      // 00000000B440: 7E0C032F
	s_mov_b64 s[60:61], 0                                      // 00000000B444: BEBC0180
	v_readlane_b32 s82, v3, 6                                  // 00000000B448: D2890052 00010D03
	s_and_b32 s82, s82, 0xffffff                               // 00000000B450: 8652FF52 00FFFFFF
	s_cmp_lt_u32 s82, s66                                      // 00000000B458: BF0A4252
	s_cselect_b32 s20, s36, s60                                // 00000000B45C: 85143C24
	v_readlane_b32 s82, v3, 7                                  // 00000000B460: D2890052 00010F03
	s_and_b32 s82, s82, 0xffffff                               // 00000000B468: 8652FF52 00FFFFFF
	s_cmp_lt_u32 s82, s66                                      // 00000000B470: BF0A4252
	s_cselect_b32 s21, s36, s60                                // 00000000B474: 85153C24
	s_mov_b64 exec, s[20:21]                                   // 00000000B478: BEFE0114
	global_atomic_add_f32 v6, v73, s[8:9]                      // 00000000B47C: DD348000 00084906
	global_atomic_add_f32 v6, v77, s[8:9] offset:256           // 00000000B484: DD348100 00084D06
	global_atomic_add_f32 v6, v81, s[8:9] offset:512           // 00000000B48C: DD348200 00085106
	global_atomic_add_f32 v6, v85, s[8:9] offset:768           // 00000000B494: DD348300 00085506
	s_mov_b64 exec, s[36:37]                                   // 00000000B49C: BEFE0124
	v_mov_b32_e32 v6, v48                                      // 00000000B4A0: 7E0C0330
	s_mov_b64 s[60:61], 0                                      // 00000000B4A4: BEBC0180
	v_readlane_b32 s82, v3, 8                                  // 00000000B4A8: D2890052 00011103
	s_and_b32 s82, s82, 0xffffff                               // 00000000B4B0: 8652FF52 00FFFFFF
	s_cmp_lt_u32 s82, s66                                      // 00000000B4B8: BF0A4252
	s_cselect_b32 s20, s36, s60                                // 00000000B4BC: 85143C24
	v_readlane_b32 s82, v3, 9                                  // 00000000B4C0: D2890052 00011303
	s_and_b32 s82, s82, 0xffffff                               // 00000000B4C8: 8652FF52 00FFFFFF
	s_cmp_lt_u32 s82, s66                                      // 00000000B4D0: BF0A4252
	s_cselect_b32 s21, s36, s60                                // 00000000B4D4: 85153C24
	s_mov_b64 exec, s[20:21]                                   // 00000000B4D8: BEFE0114
	global_atomic_add_f32 v6, v88, s[8:9]                      // 00000000B4DC: DD348000 00085806
	global_atomic_add_f32 v6, v92, s[8:9] offset:256           // 00000000B4E4: DD348100 00085C06
	global_atomic_add_f32 v6, v96, s[8:9] offset:512           // 00000000B4EC: DD348200 00086006
	global_atomic_add_f32 v6, v100, s[8:9] offset:768          // 00000000B4F4: DD348300 00086406
	s_mov_b64 exec, s[36:37]                                   // 00000000B4FC: BEFE0124
	v_mov_b32_e32 v6, v49                                      // 00000000B500: 7E0C0331
	s_mov_b64 s[60:61], 0                                      // 00000000B504: BEBC0180
	v_readlane_b32 s82, v3, 10                                 // 00000000B508: D2890052 00011503
	s_and_b32 s82, s82, 0xffffff                               // 00000000B510: 8652FF52 00FFFFFF
	s_cmp_lt_u32 s82, s66                                      // 00000000B518: BF0A4252
	s_cselect_b32 s20, s36, s60                                // 00000000B51C: 85143C24
	v_readlane_b32 s82, v3, 11                                 // 00000000B520: D2890052 00011703
	s_and_b32 s82, s82, 0xffffff                               // 00000000B528: 8652FF52 00FFFFFF
	s_cmp_lt_u32 s82, s66                                      // 00000000B530: BF0A4252
	s_cselect_b32 s21, s36, s60                                // 00000000B534: 85153C24
	s_mov_b64 exec, s[20:21]                                   // 00000000B538: BEFE0114
	global_atomic_add_f32 v6, v89, s[8:9]                      // 00000000B53C: DD348000 00085906
	global_atomic_add_f32 v6, v93, s[8:9] offset:256           // 00000000B544: DD348100 00085D06
	global_atomic_add_f32 v6, v97, s[8:9] offset:512           // 00000000B54C: DD348200 00086106
	global_atomic_add_f32 v6, v101, s[8:9] offset:768          // 00000000B554: DD348300 00086506
	s_mov_b64 exec, s[36:37]                                   // 00000000B55C: BEFE0124
	v_mov_b32_e32 v6, v50                                      // 00000000B560: 7E0C0332
	s_mov_b64 s[60:61], 0                                      // 00000000B564: BEBC0180
	v_readlane_b32 s82, v3, 12                                 // 00000000B568: D2890052 00011903
	s_and_b32 s82, s82, 0xffffff                               // 00000000B570: 8652FF52 00FFFFFF
	s_cmp_lt_u32 s82, s66                                      // 00000000B578: BF0A4252
	s_cselect_b32 s20, s36, s60                                // 00000000B57C: 85143C24
	v_readlane_b32 s82, v3, 13                                 // 00000000B580: D2890052 00011B03
	s_and_b32 s82, s82, 0xffffff                               // 00000000B588: 8652FF52 00FFFFFF
	s_cmp_lt_u32 s82, s66                                      // 00000000B590: BF0A4252
	s_cselect_b32 s21, s36, s60                                // 00000000B594: 85153C24
	s_mov_b64 exec, s[20:21]                                   // 00000000B598: BEFE0114
	global_atomic_add_f32 v6, v104, s[8:9]                     // 00000000B59C: DD348000 00086806
	global_atomic_add_f32 v6, v108, s[8:9] offset:256          // 00000000B5A4: DD348100 00086C06
	global_atomic_add_f32 v6, v112, s[8:9] offset:512          // 00000000B5AC: DD348200 00087006
	global_atomic_add_f32 v6, v116, s[8:9] offset:768          // 00000000B5B4: DD348300 00087406
	s_mov_b64 exec, s[36:37]                                   // 00000000B5BC: BEFE0124
	v_mov_b32_e32 v6, v51                                      // 00000000B5C0: 7E0C0333
	s_mov_b64 s[60:61], 0                                      // 00000000B5C4: BEBC0180
	v_readlane_b32 s82, v3, 14                                 // 00000000B5C8: D2890052 00011D03
	s_and_b32 s82, s82, 0xffffff                               // 00000000B5D0: 8652FF52 00FFFFFF
	s_cmp_lt_u32 s82, s66                                      // 00000000B5D8: BF0A4252
	s_cselect_b32 s20, s36, s60                                // 00000000B5DC: 85143C24
	v_readlane_b32 s82, v3, 15                                 // 00000000B5E0: D2890052 00011F03
	s_and_b32 s82, s82, 0xffffff                               // 00000000B5E8: 8652FF52 00FFFFFF
	s_cmp_lt_u32 s82, s66                                      // 00000000B5F0: BF0A4252
	s_cselect_b32 s21, s36, s60                                // 00000000B5F4: 85153C24
	s_mov_b64 exec, s[20:21]                                   // 00000000B5F8: BEFE0114
	global_atomic_add_f32 v6, v105, s[8:9]                     // 00000000B5FC: DD348000 00086906
	global_atomic_add_f32 v6, v109, s[8:9] offset:256          // 00000000B604: DD348100 00086D06
	global_atomic_add_f32 v6, v113, s[8:9] offset:512          // 00000000B60C: DD348200 00087106
	global_atomic_add_f32 v6, v117, s[8:9] offset:768          // 00000000B614: DD348300 00087506
	s_mov_b64 exec, s[36:37]                                   // 00000000B61C: BEFE0124
	ds_write_b64 v20, v[58:59]                                 // 00000000B620: D89A0000 00003A14
	ds_write_b64 v20, v[62:63] offset:8704                     // 00000000B628: D89A2200 00003E14
	ds_write_b64 v20, v[66:67] offset:17408                    // 00000000B630: D89A4400 00004214
	ds_write_b64 v20, v[70:71] offset:26112                    // 00000000B638: D89A6600 00004614
	ds_write_b64 v20, v[74:75] offset:2176                     // 00000000B640: D89A0880 00004A14
	ds_write_b64 v20, v[78:79] offset:10880                    // 00000000B648: D89A2A80 00004E14
	ds_write_b64 v20, v[82:83] offset:19584                    // 00000000B650: D89A4C80 00005214
	ds_write_b64 v20, v[86:87] offset:28288                    // 00000000B658: D89A6E80 00005614
	ds_write_b64 v20, v[90:91] offset:4352                     // 00000000B660: D89A1100 00005A14
	ds_write_b64 v20, v[94:95] offset:13056                    // 00000000B668: D89A3300 00005E14
	ds_write_b64 v20, v[98:99] offset:21760                    // 00000000B670: D89A5500 00006214
	ds_write_b64 v20, v[102:103] offset:30464                  // 00000000B678: D89A7700 00006614
	ds_write_b64 v20, v[106:107] offset:6528                   // 00000000B680: D89A1980 00006A14
	ds_write_b64 v20, v[110:111] offset:15232                  // 00000000B688: D89A3B80 00006E14
	ds_write_b64 v20, v[114:115] offset:23936                  // 00000000B690: D89A5D80 00007214
	ds_write_b64 v20, v[118:119] offset:32640                  // 00000000B698: D89A7F80 00007614
	s_waitcnt lgkmcnt(0)                                       // 00000000B6A0: BF8CC07F
	s_barrier                                                  // 00000000B6A4: BF8A0000
	ds_read_b32 v58, v21                                       // 00000000B6A8: D86C0000 3A000015
	ds_read_b32 v59, v21 offset:64                             // 00000000B6B0: D86C0040 3B000015
	ds_read_b32 v62, v21 offset:2176                           // 00000000B6B8: D86C0880 3E000015
	ds_read_b32 v63, v21 offset:2240                           // 00000000B6C0: D86C08C0 3F000015
	ds_read_b32 v66, v21 offset:4352                           // 00000000B6C8: D86C1100 42000015
	ds_read_b32 v67, v21 offset:4416                           // 00000000B6D0: D86C1140 43000015
	ds_read_b32 v70, v21 offset:6528                           // 00000000B6D8: D86C1980 46000015
	ds_read_b32 v71, v21 offset:6592                           // 00000000B6E0: D86C19C0 47000015
	ds_read_b32 v74, v21 offset:8704                           // 00000000B6E8: D86C2200 4A000015
	ds_read_b32 v75, v21 offset:8768                           // 00000000B6F0: D86C2240 4B000015
	ds_read_b32 v78, v21 offset:10880                          // 00000000B6F8: D86C2A80 4E000015
	ds_read_b32 v79, v21 offset:10944                          // 00000000B700: D86C2AC0 4F000015
	ds_read_b32 v82, v21 offset:13056                          // 00000000B708: D86C3300 52000015
	ds_read_b32 v83, v21 offset:13120                          // 00000000B710: D86C3340 53000015
	ds_read_b32 v86, v21 offset:15232                          // 00000000B718: D86C3B80 56000015
	ds_read_b32 v87, v21 offset:15296                          // 00000000B720: D86C3BC0 57000015
	ds_read_b32 v90, v21 offset:17408                          // 00000000B728: D86C4400 5A000015
	ds_read_b32 v91, v21 offset:17472                          // 00000000B730: D86C4440 5B000015
	ds_read_b32 v94, v21 offset:19584                          // 00000000B738: D86C4C80 5E000015
	ds_read_b32 v95, v21 offset:19648                          // 00000000B740: D86C4CC0 5F000015
	ds_read_b32 v98, v21 offset:21760                          // 00000000B748: D86C5500 62000015
	ds_read_b32 v99, v21 offset:21824                          // 00000000B750: D86C5540 63000015
	ds_read_b32 v102, v21 offset:23936                         // 00000000B758: D86C5D80 66000015
	ds_read_b32 v103, v21 offset:24000                         // 00000000B760: D86C5DC0 67000015
	ds_read_b32 v106, v21 offset:26112                         // 00000000B768: D86C6600 6A000015
	ds_read_b32 v107, v21 offset:26176                         // 00000000B770: D86C6640 6B000015
	ds_read_b32 v110, v21 offset:28288                         // 00000000B778: D86C6E80 6E000015
	ds_read_b32 v111, v21 offset:28352                         // 00000000B780: D86C6EC0 6F000015
	ds_read_b32 v114, v21 offset:30464                         // 00000000B788: D86C7700 72000015
	ds_read_b32 v115, v21 offset:30528                         // 00000000B790: D86C7740 73000015
	ds_read_b32 v118, v21 offset:32640                         // 00000000B798: D86C7F80 76000015
	ds_read_b32 v119, v21 offset:32704                         // 00000000B7A0: D86C7FC0 77000015
	s_waitcnt lgkmcnt(0)                                       // 00000000B7A8: BF8CC07F
	v_mov_b32_e32 v7, 0                                        // 00000000B7AC: 7E0E0280
	s_mov_b64 exec, s[36:37]                                   // 00000000B7B0: BEFE0124
	v_mov_b32_e32 v6, v44                                      // 00000000B7B4: 7E0C032C
	s_mov_b64 s[60:61], 0                                      // 00000000B7B8: BEBC0180
	v_readlane_b32 s82, v3, 0                                  // 00000000B7BC: D2890052 00010103
	s_and_b32 s82, s82, 0xffffff                               // 00000000B7C4: 8652FF52 00FFFFFF
	s_cmp_lt_u32 s82, s66                                      // 00000000B7CC: BF0A4252
	s_cselect_b32 s20, s36, s60                                // 00000000B7D0: 85143C24
	v_readlane_b32 s82, v3, 1                                  // 00000000B7D4: D2890052 00010303
	s_and_b32 s82, s82, 0xffffff                               // 00000000B7DC: 8652FF52 00FFFFFF
	s_cmp_lt_u32 s82, s66                                      // 00000000B7E4: BF0A4252
	s_cselect_b32 s21, s36, s60                                // 00000000B7E8: 85153C24
	s_mov_b64 exec, s[20:21]                                   // 00000000B7EC: BEFE0114
	global_atomic_add_f32 v6, v58, s[8:9] offset:8             // 00000000B7F0: DD348008 00083A06
	global_atomic_add_f32 v6, v62, s[8:9] offset:264           // 00000000B7F8: DD348108 00083E06
	global_atomic_add_f32 v6, v66, s[8:9] offset:520           // 00000000B800: DD348208 00084206
	global_atomic_add_f32 v6, v70, s[8:9] offset:776           // 00000000B808: DD348308 00084606
	s_mov_b64 exec, s[36:37]                                   // 00000000B810: BEFE0124
	v_mov_b32_e32 v6, v45                                      // 00000000B814: 7E0C032D
	s_mov_b64 s[60:61], 0                                      // 00000000B818: BEBC0180
	v_readlane_b32 s82, v3, 2                                  // 00000000B81C: D2890052 00010503
	s_and_b32 s82, s82, 0xffffff                               // 00000000B824: 8652FF52 00FFFFFF
	s_cmp_lt_u32 s82, s66                                      // 00000000B82C: BF0A4252
	s_cselect_b32 s20, s36, s60                                // 00000000B830: 85143C24
	v_readlane_b32 s82, v3, 3                                  // 00000000B834: D2890052 00010703
	s_and_b32 s82, s82, 0xffffff                               // 00000000B83C: 8652FF52 00FFFFFF
	s_cmp_lt_u32 s82, s66                                      // 00000000B844: BF0A4252
	s_cselect_b32 s21, s36, s60                                // 00000000B848: 85153C24
	s_mov_b64 exec, s[20:21]                                   // 00000000B84C: BEFE0114
	global_atomic_add_f32 v6, v59, s[8:9] offset:8             // 00000000B850: DD348008 00083B06
	global_atomic_add_f32 v6, v63, s[8:9] offset:264           // 00000000B858: DD348108 00083F06
	global_atomic_add_f32 v6, v67, s[8:9] offset:520           // 00000000B860: DD348208 00084306
	global_atomic_add_f32 v6, v71, s[8:9] offset:776           // 00000000B868: DD348308 00084706
	s_mov_b64 exec, s[36:37]                                   // 00000000B870: BEFE0124
	v_mov_b32_e32 v6, v46                                      // 00000000B874: 7E0C032E
	s_mov_b64 s[60:61], 0                                      // 00000000B878: BEBC0180
	v_readlane_b32 s82, v3, 4                                  // 00000000B87C: D2890052 00010903
	s_and_b32 s82, s82, 0xffffff                               // 00000000B884: 8652FF52 00FFFFFF
	s_cmp_lt_u32 s82, s66                                      // 00000000B88C: BF0A4252
	s_cselect_b32 s20, s36, s60                                // 00000000B890: 85143C24
	v_readlane_b32 s82, v3, 5                                  // 00000000B894: D2890052 00010B03
	s_and_b32 s82, s82, 0xffffff                               // 00000000B89C: 8652FF52 00FFFFFF
	s_cmp_lt_u32 s82, s66                                      // 00000000B8A4: BF0A4252
	s_cselect_b32 s21, s36, s60                                // 00000000B8A8: 85153C24
	s_mov_b64 exec, s[20:21]                                   // 00000000B8AC: BEFE0114
	global_atomic_add_f32 v6, v74, s[8:9] offset:8             // 00000000B8B0: DD348008 00084A06
	global_atomic_add_f32 v6, v78, s[8:9] offset:264           // 00000000B8B8: DD348108 00084E06
	global_atomic_add_f32 v6, v82, s[8:9] offset:520           // 00000000B8C0: DD348208 00085206
	global_atomic_add_f32 v6, v86, s[8:9] offset:776           // 00000000B8C8: DD348308 00085606
	s_mov_b64 exec, s[36:37]                                   // 00000000B8D0: BEFE0124
	v_mov_b32_e32 v6, v47                                      // 00000000B8D4: 7E0C032F
	s_mov_b64 s[60:61], 0                                      // 00000000B8D8: BEBC0180
	v_readlane_b32 s82, v3, 6                                  // 00000000B8DC: D2890052 00010D03
	s_and_b32 s82, s82, 0xffffff                               // 00000000B8E4: 8652FF52 00FFFFFF
	s_cmp_lt_u32 s82, s66                                      // 00000000B8EC: BF0A4252
	s_cselect_b32 s20, s36, s60                                // 00000000B8F0: 85143C24
	v_readlane_b32 s82, v3, 7                                  // 00000000B8F4: D2890052 00010F03
	s_and_b32 s82, s82, 0xffffff                               // 00000000B8FC: 8652FF52 00FFFFFF
	s_cmp_lt_u32 s82, s66                                      // 00000000B904: BF0A4252
	s_cselect_b32 s21, s36, s60                                // 00000000B908: 85153C24
	s_mov_b64 exec, s[20:21]                                   // 00000000B90C: BEFE0114
	global_atomic_add_f32 v6, v75, s[8:9] offset:8             // 00000000B910: DD348008 00084B06
	global_atomic_add_f32 v6, v79, s[8:9] offset:264           // 00000000B918: DD348108 00084F06
	global_atomic_add_f32 v6, v83, s[8:9] offset:520           // 00000000B920: DD348208 00085306
	global_atomic_add_f32 v6, v87, s[8:9] offset:776           // 00000000B928: DD348308 00085706
	s_mov_b64 exec, s[36:37]                                   // 00000000B930: BEFE0124
	v_mov_b32_e32 v6, v48                                      // 00000000B934: 7E0C0330
	s_mov_b64 s[60:61], 0                                      // 00000000B938: BEBC0180
	v_readlane_b32 s82, v3, 8                                  // 00000000B93C: D2890052 00011103
	s_and_b32 s82, s82, 0xffffff                               // 00000000B944: 8652FF52 00FFFFFF
	s_cmp_lt_u32 s82, s66                                      // 00000000B94C: BF0A4252
	s_cselect_b32 s20, s36, s60                                // 00000000B950: 85143C24
	v_readlane_b32 s82, v3, 9                                  // 00000000B954: D2890052 00011303
	s_and_b32 s82, s82, 0xffffff                               // 00000000B95C: 8652FF52 00FFFFFF
	s_cmp_lt_u32 s82, s66                                      // 00000000B964: BF0A4252
	s_cselect_b32 s21, s36, s60                                // 00000000B968: 85153C24
	s_mov_b64 exec, s[20:21]                                   // 00000000B96C: BEFE0114
	global_atomic_add_f32 v6, v90, s[8:9] offset:8             // 00000000B970: DD348008 00085A06
	global_atomic_add_f32 v6, v94, s[8:9] offset:264           // 00000000B978: DD348108 00085E06
	global_atomic_add_f32 v6, v98, s[8:9] offset:520           // 00000000B980: DD348208 00086206
	global_atomic_add_f32 v6, v102, s[8:9] offset:776          // 00000000B988: DD348308 00086606
	s_mov_b64 exec, s[36:37]                                   // 00000000B990: BEFE0124
	v_mov_b32_e32 v6, v49                                      // 00000000B994: 7E0C0331
	s_mov_b64 s[60:61], 0                                      // 00000000B998: BEBC0180
	v_readlane_b32 s82, v3, 10                                 // 00000000B99C: D2890052 00011503
	s_and_b32 s82, s82, 0xffffff                               // 00000000B9A4: 8652FF52 00FFFFFF
	s_cmp_lt_u32 s82, s66                                      // 00000000B9AC: BF0A4252
	s_cselect_b32 s20, s36, s60                                // 00000000B9B0: 85143C24
	v_readlane_b32 s82, v3, 11                                 // 00000000B9B4: D2890052 00011703
	s_and_b32 s82, s82, 0xffffff                               // 00000000B9BC: 8652FF52 00FFFFFF
	s_cmp_lt_u32 s82, s66                                      // 00000000B9C4: BF0A4252
	s_cselect_b32 s21, s36, s60                                // 00000000B9C8: 85153C24
	s_mov_b64 exec, s[20:21]                                   // 00000000B9CC: BEFE0114
	global_atomic_add_f32 v6, v91, s[8:9] offset:8             // 00000000B9D0: DD348008 00085B06
	global_atomic_add_f32 v6, v95, s[8:9] offset:264           // 00000000B9D8: DD348108 00085F06
	global_atomic_add_f32 v6, v99, s[8:9] offset:520           // 00000000B9E0: DD348208 00086306
	global_atomic_add_f32 v6, v103, s[8:9] offset:776          // 00000000B9E8: DD348308 00086706
	s_mov_b64 exec, s[36:37]                                   // 00000000B9F0: BEFE0124
	v_mov_b32_e32 v6, v50                                      // 00000000B9F4: 7E0C0332
	s_mov_b64 s[60:61], 0                                      // 00000000B9F8: BEBC0180
	v_readlane_b32 s82, v3, 12                                 // 00000000B9FC: D2890052 00011903
	s_and_b32 s82, s82, 0xffffff                               // 00000000BA04: 8652FF52 00FFFFFF
	s_cmp_lt_u32 s82, s66                                      // 00000000BA0C: BF0A4252
	s_cselect_b32 s20, s36, s60                                // 00000000BA10: 85143C24
	v_readlane_b32 s82, v3, 13                                 // 00000000BA14: D2890052 00011B03
	s_and_b32 s82, s82, 0xffffff                               // 00000000BA1C: 8652FF52 00FFFFFF
	s_cmp_lt_u32 s82, s66                                      // 00000000BA24: BF0A4252
	s_cselect_b32 s21, s36, s60                                // 00000000BA28: 85153C24
	s_mov_b64 exec, s[20:21]                                   // 00000000BA2C: BEFE0114
	global_atomic_add_f32 v6, v106, s[8:9] offset:8            // 00000000BA30: DD348008 00086A06
	global_atomic_add_f32 v6, v110, s[8:9] offset:264          // 00000000BA38: DD348108 00086E06
	global_atomic_add_f32 v6, v114, s[8:9] offset:520          // 00000000BA40: DD348208 00087206
	global_atomic_add_f32 v6, v118, s[8:9] offset:776          // 00000000BA48: DD348308 00087606
	s_mov_b64 exec, s[36:37]                                   // 00000000BA50: BEFE0124
	v_mov_b32_e32 v6, v51                                      // 00000000BA54: 7E0C0333
	s_mov_b64 s[60:61], 0                                      // 00000000BA58: BEBC0180
	v_readlane_b32 s82, v3, 14                                 // 00000000BA5C: D2890052 00011D03
	s_and_b32 s82, s82, 0xffffff                               // 00000000BA64: 8652FF52 00FFFFFF
	s_cmp_lt_u32 s82, s66                                      // 00000000BA6C: BF0A4252
	s_cselect_b32 s20, s36, s60                                // 00000000BA70: 85143C24
	v_readlane_b32 s82, v3, 15                                 // 00000000BA74: D2890052 00011F03
	s_and_b32 s82, s82, 0xffffff                               // 00000000BA7C: 8652FF52 00FFFFFF
	s_cmp_lt_u32 s82, s66                                      // 00000000BA84: BF0A4252
	s_cselect_b32 s21, s36, s60                                // 00000000BA88: 85153C24
	s_mov_b64 exec, s[20:21]                                   // 00000000BA8C: BEFE0114
	global_atomic_add_f32 v6, v107, s[8:9] offset:8            // 00000000BA90: DD348008 00086B06
	global_atomic_add_f32 v6, v111, s[8:9] offset:264          // 00000000BA98: DD348108 00086F06
	global_atomic_add_f32 v6, v115, s[8:9] offset:520          // 00000000BAA0: DD348208 00087306
	global_atomic_add_f32 v6, v119, s[8:9] offset:776          // 00000000BAA8: DD348308 00087706
	s_mov_b64 exec, s[36:37]                                   // 00000000BAB0: BEFE0124
	ds_write_b64 v20, v[120:121]                               // 00000000BAB4: D89A0000 00007814
	ds_write_b64 v20, v[124:125] offset:8704                   // 00000000BABC: D89A2200 00007C14
	ds_write_b64 v20, v[128:129] offset:17408                  // 00000000BAC4: D89A4400 00008014
	ds_write_b64 v20, v[132:133] offset:26112                  // 00000000BACC: D89A6600 00008414
	ds_write_b64 v20, v[136:137] offset:2176                   // 00000000BAD4: D89A0880 00008814
	ds_write_b64 v20, v[140:141] offset:10880                  // 00000000BADC: D89A2A80 00008C14
	ds_write_b64 v20, v[144:145] offset:19584                  // 00000000BAE4: D89A4C80 00009014
	ds_write_b64 v20, v[148:149] offset:28288                  // 00000000BAEC: D89A6E80 00009414
	ds_write_b64 v20, v[152:153] offset:4352                   // 00000000BAF4: D89A1100 00009814
	ds_write_b64 v20, v[156:157] offset:13056                  // 00000000BAFC: D89A3300 00009C14
	ds_write_b64 v20, v[160:161] offset:21760                  // 00000000BB04: D89A5500 0000A014
	ds_write_b64 v20, v[164:165] offset:30464                  // 00000000BB0C: D89A7700 0000A414
	ds_write_b64 v20, v[168:169] offset:6528                   // 00000000BB14: D89A1980 0000A814
	ds_write_b64 v20, v[172:173] offset:15232                  // 00000000BB1C: D89A3B80 0000AC14
	ds_write_b64 v20, v[176:177] offset:23936                  // 00000000BB24: D89A5D80 0000B014
	ds_write_b64 v20, v[180:181] offset:32640                  // 00000000BB2C: D89A7F80 0000B414
	s_waitcnt lgkmcnt(0)                                       // 00000000BB34: BF8CC07F
	s_barrier                                                  // 00000000BB38: BF8A0000
	ds_read_b32 v120, v21                                      // 00000000BB3C: D86C0000 78000015
	ds_read_b32 v121, v21 offset:64                            // 00000000BB44: D86C0040 79000015
	ds_read_b32 v124, v21 offset:2176                          // 00000000BB4C: D86C0880 7C000015
	ds_read_b32 v125, v21 offset:2240                          // 00000000BB54: D86C08C0 7D000015
	ds_read_b32 v128, v21 offset:4352                          // 00000000BB5C: D86C1100 80000015
	ds_read_b32 v129, v21 offset:4416                          // 00000000BB64: D86C1140 81000015
	ds_read_b32 v132, v21 offset:6528                          // 00000000BB6C: D86C1980 84000015
	ds_read_b32 v133, v21 offset:6592                          // 00000000BB74: D86C19C0 85000015
	ds_read_b32 v136, v21 offset:8704                          // 00000000BB7C: D86C2200 88000015
	ds_read_b32 v137, v21 offset:8768                          // 00000000BB84: D86C2240 89000015
	ds_read_b32 v140, v21 offset:10880                         // 00000000BB8C: D86C2A80 8C000015
	ds_read_b32 v141, v21 offset:10944                         // 00000000BB94: D86C2AC0 8D000015
	ds_read_b32 v144, v21 offset:13056                         // 00000000BB9C: D86C3300 90000015
	ds_read_b32 v145, v21 offset:13120                         // 00000000BBA4: D86C3340 91000015
	ds_read_b32 v148, v21 offset:15232                         // 00000000BBAC: D86C3B80 94000015
	ds_read_b32 v149, v21 offset:15296                         // 00000000BBB4: D86C3BC0 95000015
	ds_read_b32 v152, v21 offset:17408                         // 00000000BBBC: D86C4400 98000015
	ds_read_b32 v153, v21 offset:17472                         // 00000000BBC4: D86C4440 99000015
	ds_read_b32 v156, v21 offset:19584                         // 00000000BBCC: D86C4C80 9C000015
	ds_read_b32 v157, v21 offset:19648                         // 00000000BBD4: D86C4CC0 9D000015
	ds_read_b32 v160, v21 offset:21760                         // 00000000BBDC: D86C5500 A0000015
	ds_read_b32 v161, v21 offset:21824                         // 00000000BBE4: D86C5540 A1000015
	ds_read_b32 v164, v21 offset:23936                         // 00000000BBEC: D86C5D80 A4000015
	ds_read_b32 v165, v21 offset:24000                         // 00000000BBF4: D86C5DC0 A5000015
	ds_read_b32 v168, v21 offset:26112                         // 00000000BBFC: D86C6600 A8000015
	ds_read_b32 v169, v21 offset:26176                         // 00000000BC04: D86C6640 A9000015
	ds_read_b32 v172, v21 offset:28288                         // 00000000BC0C: D86C6E80 AC000015
	ds_read_b32 v173, v21 offset:28352                         // 00000000BC14: D86C6EC0 AD000015
	ds_read_b32 v176, v21 offset:30464                         // 00000000BC1C: D86C7700 B0000015
	ds_read_b32 v177, v21 offset:30528                         // 00000000BC24: D86C7740 B1000015
	ds_read_b32 v180, v21 offset:32640                         // 00000000BC2C: D86C7F80 B4000015
	ds_read_b32 v181, v21 offset:32704                         // 00000000BC34: D86C7FC0 B5000015
	s_mul_i32 s60, s65, 4                                      // 00000000BC3C: 923C8441
	s_add_u32 s8, s60, s8                                      // 00000000BC40: 8008083C
	s_addc_u32 s9, 0, s9                                       // 00000000BC44: 82090980
	s_waitcnt lgkmcnt(0)                                       // 00000000BC48: BF8CC07F
	v_mov_b32_e32 v7, 0                                        // 00000000BC4C: 7E0E0280
	s_mov_b64 exec, s[36:37]                                   // 00000000BC50: BEFE0124
	v_mov_b32_e32 v6, v44                                      // 00000000BC54: 7E0C032C
	s_mov_b64 s[60:61], 0                                      // 00000000BC58: BEBC0180
	v_readlane_b32 s82, v3, 0                                  // 00000000BC5C: D2890052 00010103
	s_and_b32 s82, s82, 0xffffff                               // 00000000BC64: 8652FF52 00FFFFFF
	s_cmp_lt_u32 s82, s66                                      // 00000000BC6C: BF0A4252
	s_cselect_b32 s20, s36, s60                                // 00000000BC70: 85143C24
	v_readlane_b32 s82, v3, 1                                  // 00000000BC74: D2890052 00010303
	s_and_b32 s82, s82, 0xffffff                               // 00000000BC7C: 8652FF52 00FFFFFF
	s_cmp_lt_u32 s82, s66                                      // 00000000BC84: BF0A4252
	s_cselect_b32 s21, s36, s60                                // 00000000BC88: 85153C24
	s_mov_b64 exec, s[20:21]                                   // 00000000BC8C: BEFE0114
	global_atomic_add_f32 v6, v120, s[8:9]                     // 00000000BC90: DD348000 00087806
	global_atomic_add_f32 v6, v124, s[8:9] offset:256          // 00000000BC98: DD348100 00087C06
	global_atomic_add_f32 v6, v128, s[8:9] offset:512          // 00000000BCA0: DD348200 00088006
	global_atomic_add_f32 v6, v132, s[8:9] offset:768          // 00000000BCA8: DD348300 00088406
	s_mov_b64 exec, s[36:37]                                   // 00000000BCB0: BEFE0124
	v_mov_b32_e32 v6, v45                                      // 00000000BCB4: 7E0C032D
	s_mov_b64 s[60:61], 0                                      // 00000000BCB8: BEBC0180
	v_readlane_b32 s82, v3, 2                                  // 00000000BCBC: D2890052 00010503
	s_and_b32 s82, s82, 0xffffff                               // 00000000BCC4: 8652FF52 00FFFFFF
	s_cmp_lt_u32 s82, s66                                      // 00000000BCCC: BF0A4252
	s_cselect_b32 s20, s36, s60                                // 00000000BCD0: 85143C24
	v_readlane_b32 s82, v3, 3                                  // 00000000BCD4: D2890052 00010703
	s_and_b32 s82, s82, 0xffffff                               // 00000000BCDC: 8652FF52 00FFFFFF
	s_cmp_lt_u32 s82, s66                                      // 00000000BCE4: BF0A4252
	s_cselect_b32 s21, s36, s60                                // 00000000BCE8: 85153C24
	s_mov_b64 exec, s[20:21]                                   // 00000000BCEC: BEFE0114
	global_atomic_add_f32 v6, v121, s[8:9]                     // 00000000BCF0: DD348000 00087906
	global_atomic_add_f32 v6, v125, s[8:9] offset:256          // 00000000BCF8: DD348100 00087D06
	global_atomic_add_f32 v6, v129, s[8:9] offset:512          // 00000000BD00: DD348200 00088106
	global_atomic_add_f32 v6, v133, s[8:9] offset:768          // 00000000BD08: DD348300 00088506
	s_mov_b64 exec, s[36:37]                                   // 00000000BD10: BEFE0124
	v_mov_b32_e32 v6, v46                                      // 00000000BD14: 7E0C032E
	s_mov_b64 s[60:61], 0                                      // 00000000BD18: BEBC0180
	v_readlane_b32 s82, v3, 4                                  // 00000000BD1C: D2890052 00010903
	s_and_b32 s82, s82, 0xffffff                               // 00000000BD24: 8652FF52 00FFFFFF
	s_cmp_lt_u32 s82, s66                                      // 00000000BD2C: BF0A4252
	s_cselect_b32 s20, s36, s60                                // 00000000BD30: 85143C24
	v_readlane_b32 s82, v3, 5                                  // 00000000BD34: D2890052 00010B03
	s_and_b32 s82, s82, 0xffffff                               // 00000000BD3C: 8652FF52 00FFFFFF
	s_cmp_lt_u32 s82, s66                                      // 00000000BD44: BF0A4252
	s_cselect_b32 s21, s36, s60                                // 00000000BD48: 85153C24
	s_mov_b64 exec, s[20:21]                                   // 00000000BD4C: BEFE0114
	global_atomic_add_f32 v6, v136, s[8:9]                     // 00000000BD50: DD348000 00088806
	global_atomic_add_f32 v6, v140, s[8:9] offset:256          // 00000000BD58: DD348100 00088C06
	global_atomic_add_f32 v6, v144, s[8:9] offset:512          // 00000000BD60: DD348200 00089006
	global_atomic_add_f32 v6, v148, s[8:9] offset:768          // 00000000BD68: DD348300 00089406
	s_mov_b64 exec, s[36:37]                                   // 00000000BD70: BEFE0124
	v_mov_b32_e32 v6, v47                                      // 00000000BD74: 7E0C032F
	s_mov_b64 s[60:61], 0                                      // 00000000BD78: BEBC0180
	v_readlane_b32 s82, v3, 6                                  // 00000000BD7C: D2890052 00010D03
	s_and_b32 s82, s82, 0xffffff                               // 00000000BD84: 8652FF52 00FFFFFF
	s_cmp_lt_u32 s82, s66                                      // 00000000BD8C: BF0A4252
	s_cselect_b32 s20, s36, s60                                // 00000000BD90: 85143C24
	v_readlane_b32 s82, v3, 7                                  // 00000000BD94: D2890052 00010F03
	s_and_b32 s82, s82, 0xffffff                               // 00000000BD9C: 8652FF52 00FFFFFF
	s_cmp_lt_u32 s82, s66                                      // 00000000BDA4: BF0A4252
	s_cselect_b32 s21, s36, s60                                // 00000000BDA8: 85153C24
	s_mov_b64 exec, s[20:21]                                   // 00000000BDAC: BEFE0114
	global_atomic_add_f32 v6, v137, s[8:9]                     // 00000000BDB0: DD348000 00088906
	global_atomic_add_f32 v6, v141, s[8:9] offset:256          // 00000000BDB8: DD348100 00088D06
	global_atomic_add_f32 v6, v145, s[8:9] offset:512          // 00000000BDC0: DD348200 00089106
	global_atomic_add_f32 v6, v149, s[8:9] offset:768          // 00000000BDC8: DD348300 00089506
	s_mov_b64 exec, s[36:37]                                   // 00000000BDD0: BEFE0124
	v_mov_b32_e32 v6, v48                                      // 00000000BDD4: 7E0C0330
	s_mov_b64 s[60:61], 0                                      // 00000000BDD8: BEBC0180
	v_readlane_b32 s82, v3, 8                                  // 00000000BDDC: D2890052 00011103
	s_and_b32 s82, s82, 0xffffff                               // 00000000BDE4: 8652FF52 00FFFFFF
	s_cmp_lt_u32 s82, s66                                      // 00000000BDEC: BF0A4252
	s_cselect_b32 s20, s36, s60                                // 00000000BDF0: 85143C24
	v_readlane_b32 s82, v3, 9                                  // 00000000BDF4: D2890052 00011303
	s_and_b32 s82, s82, 0xffffff                               // 00000000BDFC: 8652FF52 00FFFFFF
	s_cmp_lt_u32 s82, s66                                      // 00000000BE04: BF0A4252
	s_cselect_b32 s21, s36, s60                                // 00000000BE08: 85153C24
	s_mov_b64 exec, s[20:21]                                   // 00000000BE0C: BEFE0114
	global_atomic_add_f32 v6, v152, s[8:9]                     // 00000000BE10: DD348000 00089806
	global_atomic_add_f32 v6, v156, s[8:9] offset:256          // 00000000BE18: DD348100 00089C06
	global_atomic_add_f32 v6, v160, s[8:9] offset:512          // 00000000BE20: DD348200 0008A006
	global_atomic_add_f32 v6, v164, s[8:9] offset:768          // 00000000BE28: DD348300 0008A406
	s_mov_b64 exec, s[36:37]                                   // 00000000BE30: BEFE0124
	v_mov_b32_e32 v6, v49                                      // 00000000BE34: 7E0C0331
	s_mov_b64 s[60:61], 0                                      // 00000000BE38: BEBC0180
	v_readlane_b32 s82, v3, 10                                 // 00000000BE3C: D2890052 00011503
	s_and_b32 s82, s82, 0xffffff                               // 00000000BE44: 8652FF52 00FFFFFF
	s_cmp_lt_u32 s82, s66                                      // 00000000BE4C: BF0A4252
	s_cselect_b32 s20, s36, s60                                // 00000000BE50: 85143C24
	v_readlane_b32 s82, v3, 11                                 // 00000000BE54: D2890052 00011703
	s_and_b32 s82, s82, 0xffffff                               // 00000000BE5C: 8652FF52 00FFFFFF
	s_cmp_lt_u32 s82, s66                                      // 00000000BE64: BF0A4252
	s_cselect_b32 s21, s36, s60                                // 00000000BE68: 85153C24
	s_mov_b64 exec, s[20:21]                                   // 00000000BE6C: BEFE0114
	global_atomic_add_f32 v6, v153, s[8:9]                     // 00000000BE70: DD348000 00089906
	global_atomic_add_f32 v6, v157, s[8:9] offset:256          // 00000000BE78: DD348100 00089D06
	global_atomic_add_f32 v6, v161, s[8:9] offset:512          // 00000000BE80: DD348200 0008A106
	global_atomic_add_f32 v6, v165, s[8:9] offset:768          // 00000000BE88: DD348300 0008A506
	s_mov_b64 exec, s[36:37]                                   // 00000000BE90: BEFE0124
	v_mov_b32_e32 v6, v50                                      // 00000000BE94: 7E0C0332
	s_mov_b64 s[60:61], 0                                      // 00000000BE98: BEBC0180
	v_readlane_b32 s82, v3, 12                                 // 00000000BE9C: D2890052 00011903
	s_and_b32 s82, s82, 0xffffff                               // 00000000BEA4: 8652FF52 00FFFFFF
	s_cmp_lt_u32 s82, s66                                      // 00000000BEAC: BF0A4252
	s_cselect_b32 s20, s36, s60                                // 00000000BEB0: 85143C24
	v_readlane_b32 s82, v3, 13                                 // 00000000BEB4: D2890052 00011B03
	s_and_b32 s82, s82, 0xffffff                               // 00000000BEBC: 8652FF52 00FFFFFF
	s_cmp_lt_u32 s82, s66                                      // 00000000BEC4: BF0A4252
	s_cselect_b32 s21, s36, s60                                // 00000000BEC8: 85153C24
	s_mov_b64 exec, s[20:21]                                   // 00000000BECC: BEFE0114
	global_atomic_add_f32 v6, v168, s[8:9]                     // 00000000BED0: DD348000 0008A806
	global_atomic_add_f32 v6, v172, s[8:9] offset:256          // 00000000BED8: DD348100 0008AC06
	global_atomic_add_f32 v6, v176, s[8:9] offset:512          // 00000000BEE0: DD348200 0008B006
	global_atomic_add_f32 v6, v180, s[8:9] offset:768          // 00000000BEE8: DD348300 0008B406
	s_mov_b64 exec, s[36:37]                                   // 00000000BEF0: BEFE0124
	v_mov_b32_e32 v6, v51                                      // 00000000BEF4: 7E0C0333
	s_mov_b64 s[60:61], 0                                      // 00000000BEF8: BEBC0180
	v_readlane_b32 s82, v3, 14                                 // 00000000BEFC: D2890052 00011D03
	s_and_b32 s82, s82, 0xffffff                               // 00000000BF04: 8652FF52 00FFFFFF
	s_cmp_lt_u32 s82, s66                                      // 00000000BF0C: BF0A4252
	s_cselect_b32 s20, s36, s60                                // 00000000BF10: 85143C24
	v_readlane_b32 s82, v3, 15                                 // 00000000BF14: D2890052 00011F03
	s_and_b32 s82, s82, 0xffffff                               // 00000000BF1C: 8652FF52 00FFFFFF
	s_cmp_lt_u32 s82, s66                                      // 00000000BF24: BF0A4252
	s_cselect_b32 s21, s36, s60                                // 00000000BF28: 85153C24
	s_mov_b64 exec, s[20:21]                                   // 00000000BF2C: BEFE0114
	global_atomic_add_f32 v6, v169, s[8:9]                     // 00000000BF30: DD348000 0008A906
	global_atomic_add_f32 v6, v173, s[8:9] offset:256          // 00000000BF38: DD348100 0008AD06
	global_atomic_add_f32 v6, v177, s[8:9] offset:512          // 00000000BF40: DD348200 0008B106
	global_atomic_add_f32 v6, v181, s[8:9] offset:768          // 00000000BF48: DD348300 0008B506
	s_mov_b64 exec, s[36:37]                                   // 00000000BF50: BEFE0124
	ds_write_b64 v20, v[122:123]                               // 00000000BF54: D89A0000 00007A14
	ds_write_b64 v20, v[126:127] offset:8704                   // 00000000BF5C: D89A2200 00007E14
	ds_write_b64 v20, v[130:131] offset:17408                  // 00000000BF64: D89A4400 00008214
	ds_write_b64 v20, v[134:135] offset:26112                  // 00000000BF6C: D89A6600 00008614
	ds_write_b64 v20, v[138:139] offset:2176                   // 00000000BF74: D89A0880 00008A14
	ds_write_b64 v20, v[142:143] offset:10880                  // 00000000BF7C: D89A2A80 00008E14
	ds_write_b64 v20, v[146:147] offset:19584                  // 00000000BF84: D89A4C80 00009214
	ds_write_b64 v20, v[150:151] offset:28288                  // 00000000BF8C: D89A6E80 00009614
	ds_write_b64 v20, v[154:155] offset:4352                   // 00000000BF94: D89A1100 00009A14
	ds_write_b64 v20, v[158:159] offset:13056                  // 00000000BF9C: D89A3300 00009E14
	ds_write_b64 v20, v[162:163] offset:21760                  // 00000000BFA4: D89A5500 0000A214
	ds_write_b64 v20, v[166:167] offset:30464                  // 00000000BFAC: D89A7700 0000A614
	ds_write_b64 v20, v[170:171] offset:6528                   // 00000000BFB4: D89A1980 0000AA14
	ds_write_b64 v20, v[174:175] offset:15232                  // 00000000BFBC: D89A3B80 0000AE14
	ds_write_b64 v20, v[178:179] offset:23936                  // 00000000BFC4: D89A5D80 0000B214
	ds_write_b64 v20, v[182:183] offset:32640                  // 00000000BFCC: D89A7F80 0000B614
	s_waitcnt lgkmcnt(0)                                       // 00000000BFD4: BF8CC07F
	s_barrier                                                  // 00000000BFD8: BF8A0000
	ds_read_b32 v122, v21                                      // 00000000BFDC: D86C0000 7A000015
	ds_read_b32 v123, v21 offset:64                            // 00000000BFE4: D86C0040 7B000015
	ds_read_b32 v126, v21 offset:2176                          // 00000000BFEC: D86C0880 7E000015
	ds_read_b32 v127, v21 offset:2240                          // 00000000BFF4: D86C08C0 7F000015
	ds_read_b32 v130, v21 offset:4352                          // 00000000BFFC: D86C1100 82000015
	ds_read_b32 v131, v21 offset:4416                          // 00000000C004: D86C1140 83000015
	ds_read_b32 v134, v21 offset:6528                          // 00000000C00C: D86C1980 86000015
	ds_read_b32 v135, v21 offset:6592                          // 00000000C014: D86C19C0 87000015
	ds_read_b32 v138, v21 offset:8704                          // 00000000C01C: D86C2200 8A000015
	ds_read_b32 v139, v21 offset:8768                          // 00000000C024: D86C2240 8B000015
	ds_read_b32 v142, v21 offset:10880                         // 00000000C02C: D86C2A80 8E000015
	ds_read_b32 v143, v21 offset:10944                         // 00000000C034: D86C2AC0 8F000015
	ds_read_b32 v146, v21 offset:13056                         // 00000000C03C: D86C3300 92000015
	ds_read_b32 v147, v21 offset:13120                         // 00000000C044: D86C3340 93000015
	ds_read_b32 v150, v21 offset:15232                         // 00000000C04C: D86C3B80 96000015
	ds_read_b32 v151, v21 offset:15296                         // 00000000C054: D86C3BC0 97000015
	ds_read_b32 v154, v21 offset:17408                         // 00000000C05C: D86C4400 9A000015
	ds_read_b32 v155, v21 offset:17472                         // 00000000C064: D86C4440 9B000015
	ds_read_b32 v158, v21 offset:19584                         // 00000000C06C: D86C4C80 9E000015
	ds_read_b32 v159, v21 offset:19648                         // 00000000C074: D86C4CC0 9F000015
	ds_read_b32 v162, v21 offset:21760                         // 00000000C07C: D86C5500 A2000015
	ds_read_b32 v163, v21 offset:21824                         // 00000000C084: D86C5540 A3000015
	ds_read_b32 v166, v21 offset:23936                         // 00000000C08C: D86C5D80 A6000015
	ds_read_b32 v167, v21 offset:24000                         // 00000000C094: D86C5DC0 A7000015
	ds_read_b32 v170, v21 offset:26112                         // 00000000C09C: D86C6600 AA000015
	ds_read_b32 v171, v21 offset:26176                         // 00000000C0A4: D86C6640 AB000015
	ds_read_b32 v174, v21 offset:28288                         // 00000000C0AC: D86C6E80 AE000015
	ds_read_b32 v175, v21 offset:28352                         // 00000000C0B4: D86C6EC0 AF000015
	ds_read_b32 v178, v21 offset:30464                         // 00000000C0BC: D86C7700 B2000015
	ds_read_b32 v179, v21 offset:30528                         // 00000000C0C4: D86C7740 B3000015
	ds_read_b32 v182, v21 offset:32640                         // 00000000C0CC: D86C7F80 B6000015
	ds_read_b32 v183, v21 offset:32704                         // 00000000C0D4: D86C7FC0 B7000015
	s_waitcnt lgkmcnt(0)                                       // 00000000C0DC: BF8CC07F
	v_mov_b32_e32 v7, 0                                        // 00000000C0E0: 7E0E0280
	s_mov_b64 exec, s[36:37]                                   // 00000000C0E4: BEFE0124
	v_mov_b32_e32 v6, v44                                      // 00000000C0E8: 7E0C032C
	s_mov_b64 s[60:61], 0                                      // 00000000C0EC: BEBC0180
	v_readlane_b32 s82, v3, 0                                  // 00000000C0F0: D2890052 00010103
	s_and_b32 s82, s82, 0xffffff                               // 00000000C0F8: 8652FF52 00FFFFFF
	s_cmp_lt_u32 s82, s66                                      // 00000000C100: BF0A4252
	s_cselect_b32 s20, s36, s60                                // 00000000C104: 85143C24
	v_readlane_b32 s82, v3, 1                                  // 00000000C108: D2890052 00010303
	s_and_b32 s82, s82, 0xffffff                               // 00000000C110: 8652FF52 00FFFFFF
	s_cmp_lt_u32 s82, s66                                      // 00000000C118: BF0A4252
	s_cselect_b32 s21, s36, s60                                // 00000000C11C: 85153C24
	s_mov_b64 exec, s[20:21]                                   // 00000000C120: BEFE0114
	global_atomic_add_f32 v6, v122, s[8:9] offset:8            // 00000000C124: DD348008 00087A06
	global_atomic_add_f32 v6, v126, s[8:9] offset:264          // 00000000C12C: DD348108 00087E06
	global_atomic_add_f32 v6, v130, s[8:9] offset:520          // 00000000C134: DD348208 00088206
	global_atomic_add_f32 v6, v134, s[8:9] offset:776          // 00000000C13C: DD348308 00088606
	s_mov_b64 exec, s[36:37]                                   // 00000000C144: BEFE0124
	v_mov_b32_e32 v6, v45                                      // 00000000C148: 7E0C032D
	s_mov_b64 s[60:61], 0                                      // 00000000C14C: BEBC0180
	v_readlane_b32 s82, v3, 2                                  // 00000000C150: D2890052 00010503
	s_and_b32 s82, s82, 0xffffff                               // 00000000C158: 8652FF52 00FFFFFF
	s_cmp_lt_u32 s82, s66                                      // 00000000C160: BF0A4252
	s_cselect_b32 s20, s36, s60                                // 00000000C164: 85143C24
	v_readlane_b32 s82, v3, 3                                  // 00000000C168: D2890052 00010703
	s_and_b32 s82, s82, 0xffffff                               // 00000000C170: 8652FF52 00FFFFFF
	s_cmp_lt_u32 s82, s66                                      // 00000000C178: BF0A4252
	s_cselect_b32 s21, s36, s60                                // 00000000C17C: 85153C24
	s_mov_b64 exec, s[20:21]                                   // 00000000C180: BEFE0114
	global_atomic_add_f32 v6, v123, s[8:9] offset:8            // 00000000C184: DD348008 00087B06
	global_atomic_add_f32 v6, v127, s[8:9] offset:264          // 00000000C18C: DD348108 00087F06
	global_atomic_add_f32 v6, v131, s[8:9] offset:520          // 00000000C194: DD348208 00088306
	global_atomic_add_f32 v6, v135, s[8:9] offset:776          // 00000000C19C: DD348308 00088706
	s_mov_b64 exec, s[36:37]                                   // 00000000C1A4: BEFE0124
	v_mov_b32_e32 v6, v46                                      // 00000000C1A8: 7E0C032E
	s_mov_b64 s[60:61], 0                                      // 00000000C1AC: BEBC0180
	v_readlane_b32 s82, v3, 4                                  // 00000000C1B0: D2890052 00010903
	s_and_b32 s82, s82, 0xffffff                               // 00000000C1B8: 8652FF52 00FFFFFF
	s_cmp_lt_u32 s82, s66                                      // 00000000C1C0: BF0A4252
	s_cselect_b32 s20, s36, s60                                // 00000000C1C4: 85143C24
	v_readlane_b32 s82, v3, 5                                  // 00000000C1C8: D2890052 00010B03
	s_and_b32 s82, s82, 0xffffff                               // 00000000C1D0: 8652FF52 00FFFFFF
	s_cmp_lt_u32 s82, s66                                      // 00000000C1D8: BF0A4252
	s_cselect_b32 s21, s36, s60                                // 00000000C1DC: 85153C24
	s_mov_b64 exec, s[20:21]                                   // 00000000C1E0: BEFE0114
	global_atomic_add_f32 v6, v138, s[8:9] offset:8            // 00000000C1E4: DD348008 00088A06
	global_atomic_add_f32 v6, v142, s[8:9] offset:264          // 00000000C1EC: DD348108 00088E06
	global_atomic_add_f32 v6, v146, s[8:9] offset:520          // 00000000C1F4: DD348208 00089206
	global_atomic_add_f32 v6, v150, s[8:9] offset:776          // 00000000C1FC: DD348308 00089606
	s_mov_b64 exec, s[36:37]                                   // 00000000C204: BEFE0124
	v_mov_b32_e32 v6, v47                                      // 00000000C208: 7E0C032F
	s_mov_b64 s[60:61], 0                                      // 00000000C20C: BEBC0180
	v_readlane_b32 s82, v3, 6                                  // 00000000C210: D2890052 00010D03
	s_and_b32 s82, s82, 0xffffff                               // 00000000C218: 8652FF52 00FFFFFF
	s_cmp_lt_u32 s82, s66                                      // 00000000C220: BF0A4252
	s_cselect_b32 s20, s36, s60                                // 00000000C224: 85143C24
	v_readlane_b32 s82, v3, 7                                  // 00000000C228: D2890052 00010F03
	s_and_b32 s82, s82, 0xffffff                               // 00000000C230: 8652FF52 00FFFFFF
	s_cmp_lt_u32 s82, s66                                      // 00000000C238: BF0A4252
	s_cselect_b32 s21, s36, s60                                // 00000000C23C: 85153C24
	s_mov_b64 exec, s[20:21]                                   // 00000000C240: BEFE0114
	global_atomic_add_f32 v6, v139, s[8:9] offset:8            // 00000000C244: DD348008 00088B06
	global_atomic_add_f32 v6, v143, s[8:9] offset:264          // 00000000C24C: DD348108 00088F06
	global_atomic_add_f32 v6, v147, s[8:9] offset:520          // 00000000C254: DD348208 00089306
	global_atomic_add_f32 v6, v151, s[8:9] offset:776          // 00000000C25C: DD348308 00089706
	s_mov_b64 exec, s[36:37]                                   // 00000000C264: BEFE0124
	v_mov_b32_e32 v6, v48                                      // 00000000C268: 7E0C0330
	s_mov_b64 s[60:61], 0                                      // 00000000C26C: BEBC0180
	v_readlane_b32 s82, v3, 8                                  // 00000000C270: D2890052 00011103
	s_and_b32 s82, s82, 0xffffff                               // 00000000C278: 8652FF52 00FFFFFF
	s_cmp_lt_u32 s82, s66                                      // 00000000C280: BF0A4252
	s_cselect_b32 s20, s36, s60                                // 00000000C284: 85143C24
	v_readlane_b32 s82, v3, 9                                  // 00000000C288: D2890052 00011303
	s_and_b32 s82, s82, 0xffffff                               // 00000000C290: 8652FF52 00FFFFFF
	s_cmp_lt_u32 s82, s66                                      // 00000000C298: BF0A4252
	s_cselect_b32 s21, s36, s60                                // 00000000C29C: 85153C24
	s_mov_b64 exec, s[20:21]                                   // 00000000C2A0: BEFE0114
	global_atomic_add_f32 v6, v154, s[8:9] offset:8            // 00000000C2A4: DD348008 00089A06
	global_atomic_add_f32 v6, v158, s[8:9] offset:264          // 00000000C2AC: DD348108 00089E06
	global_atomic_add_f32 v6, v162, s[8:9] offset:520          // 00000000C2B4: DD348208 0008A206
	global_atomic_add_f32 v6, v166, s[8:9] offset:776          // 00000000C2BC: DD348308 0008A606
	s_mov_b64 exec, s[36:37]                                   // 00000000C2C4: BEFE0124
	v_mov_b32_e32 v6, v49                                      // 00000000C2C8: 7E0C0331
	s_mov_b64 s[60:61], 0                                      // 00000000C2CC: BEBC0180
	v_readlane_b32 s82, v3, 10                                 // 00000000C2D0: D2890052 00011503
	s_and_b32 s82, s82, 0xffffff                               // 00000000C2D8: 8652FF52 00FFFFFF
	s_cmp_lt_u32 s82, s66                                      // 00000000C2E0: BF0A4252
	s_cselect_b32 s20, s36, s60                                // 00000000C2E4: 85143C24
	v_readlane_b32 s82, v3, 11                                 // 00000000C2E8: D2890052 00011703
	s_and_b32 s82, s82, 0xffffff                               // 00000000C2F0: 8652FF52 00FFFFFF
	s_cmp_lt_u32 s82, s66                                      // 00000000C2F8: BF0A4252
	s_cselect_b32 s21, s36, s60                                // 00000000C2FC: 85153C24
	s_mov_b64 exec, s[20:21]                                   // 00000000C300: BEFE0114
	global_atomic_add_f32 v6, v155, s[8:9] offset:8            // 00000000C304: DD348008 00089B06
	global_atomic_add_f32 v6, v159, s[8:9] offset:264          // 00000000C30C: DD348108 00089F06
	global_atomic_add_f32 v6, v163, s[8:9] offset:520          // 00000000C314: DD348208 0008A306
	global_atomic_add_f32 v6, v167, s[8:9] offset:776          // 00000000C31C: DD348308 0008A706
	s_mov_b64 exec, s[36:37]                                   // 00000000C324: BEFE0124
	v_mov_b32_e32 v6, v50                                      // 00000000C328: 7E0C0332
	s_mov_b64 s[60:61], 0                                      // 00000000C32C: BEBC0180
	v_readlane_b32 s82, v3, 12                                 // 00000000C330: D2890052 00011903
	s_and_b32 s82, s82, 0xffffff                               // 00000000C338: 8652FF52 00FFFFFF
	s_cmp_lt_u32 s82, s66                                      // 00000000C340: BF0A4252
	s_cselect_b32 s20, s36, s60                                // 00000000C344: 85143C24
	v_readlane_b32 s82, v3, 13                                 // 00000000C348: D2890052 00011B03
	s_and_b32 s82, s82, 0xffffff                               // 00000000C350: 8652FF52 00FFFFFF
	s_cmp_lt_u32 s82, s66                                      // 00000000C358: BF0A4252
	s_cselect_b32 s21, s36, s60                                // 00000000C35C: 85153C24
	s_mov_b64 exec, s[20:21]                                   // 00000000C360: BEFE0114
	global_atomic_add_f32 v6, v170, s[8:9] offset:8            // 00000000C364: DD348008 0008AA06
	global_atomic_add_f32 v6, v174, s[8:9] offset:264          // 00000000C36C: DD348108 0008AE06
	global_atomic_add_f32 v6, v178, s[8:9] offset:520          // 00000000C374: DD348208 0008B206
	global_atomic_add_f32 v6, v182, s[8:9] offset:776          // 00000000C37C: DD348308 0008B606
	s_mov_b64 exec, s[36:37]                                   // 00000000C384: BEFE0124
	v_mov_b32_e32 v6, v51                                      // 00000000C388: 7E0C0333
	s_mov_b64 s[60:61], 0                                      // 00000000C38C: BEBC0180
	v_readlane_b32 s82, v3, 14                                 // 00000000C390: D2890052 00011D03
	s_and_b32 s82, s82, 0xffffff                               // 00000000C398: 8652FF52 00FFFFFF
	s_cmp_lt_u32 s82, s66                                      // 00000000C3A0: BF0A4252
	s_cselect_b32 s20, s36, s60                                // 00000000C3A4: 85143C24
	v_readlane_b32 s82, v3, 15                                 // 00000000C3A8: D2890052 00011F03
	s_and_b32 s82, s82, 0xffffff                               // 00000000C3B0: 8652FF52 00FFFFFF
	s_cmp_lt_u32 s82, s66                                      // 00000000C3B8: BF0A4252
	s_cselect_b32 s21, s36, s60                                // 00000000C3BC: 85153C24
	s_mov_b64 exec, s[20:21]                                   // 00000000C3C0: BEFE0114
	global_atomic_add_f32 v6, v171, s[8:9] offset:8            // 00000000C3C4: DD348008 0008AB06
	global_atomic_add_f32 v6, v175, s[8:9] offset:264          // 00000000C3CC: DD348108 0008AF06
	global_atomic_add_f32 v6, v179, s[8:9] offset:520          // 00000000C3D4: DD348208 0008B306
	global_atomic_add_f32 v6, v183, s[8:9] offset:776          // 00000000C3DC: DD348308 0008B706
	s_mov_b64 exec, s[36:37]                                   // 00000000C3E4: BEFE0124
	s_branch label_267E                                        // 00000000C3E8: BF820000

000000000000c3ec <label_267E>:
	s_waitcnt vmcnt(0) expcnt(0) lgkmcnt(0)                    // 00000000C3EC: BF8C0000
	s_endpgm                                                   // 00000000C3F0: BF810000
